;; amdgpu-corpus repo=ROCm/rocFFT kind=compiled arch=gfx950 opt=O3
	.text
	.amdgcn_target "amdgcn-amd-amdhsa--gfx950"
	.amdhsa_code_object_version 6
	.protected	fft_rtc_back_len1512_factors_2_2_2_3_3_3_7_wgs_63_tpt_63_halfLds_dp_ip_CI_sbrr_dirReg ; -- Begin function fft_rtc_back_len1512_factors_2_2_2_3_3_3_7_wgs_63_tpt_63_halfLds_dp_ip_CI_sbrr_dirReg
	.globl	fft_rtc_back_len1512_factors_2_2_2_3_3_3_7_wgs_63_tpt_63_halfLds_dp_ip_CI_sbrr_dirReg
	.p2align	8
	.type	fft_rtc_back_len1512_factors_2_2_2_3_3_3_7_wgs_63_tpt_63_halfLds_dp_ip_CI_sbrr_dirReg,@function
fft_rtc_back_len1512_factors_2_2_2_3_3_3_7_wgs_63_tpt_63_halfLds_dp_ip_CI_sbrr_dirReg: ; @fft_rtc_back_len1512_factors_2_2_2_3_3_3_7_wgs_63_tpt_63_halfLds_dp_ip_CI_sbrr_dirReg
; %bb.0:
	s_load_dwordx2 s[12:13], s[0:1], 0x18
	s_load_dwordx4 s[4:7], s[0:1], 0x0
	s_load_dwordx2 s[10:11], s[0:1], 0x50
	v_mul_u32_u24_e32 v1, 0x411, v0
	v_add_u32_sdwa v6, s2, v1 dst_sel:DWORD dst_unused:UNUSED_PAD src0_sel:DWORD src1_sel:WORD_1
	s_waitcnt lgkmcnt(0)
	s_load_dwordx2 s[8:9], s[12:13], 0x0
	v_mov_b32_e32 v4, 0
	v_cmp_lt_u64_e64 s[2:3], s[6:7], 2
	v_mov_b32_e32 v7, v4
	s_and_b64 vcc, exec, s[2:3]
	v_mov_b64_e32 v[2:3], 0
	s_cbranch_vccnz .LBB0_8
; %bb.1:
	s_load_dwordx2 s[2:3], s[0:1], 0x10
	s_add_u32 s14, s12, 8
	s_addc_u32 s15, s13, 0
	s_mov_b64 s[16:17], 1
	v_mov_b64_e32 v[2:3], 0
	s_waitcnt lgkmcnt(0)
	s_add_u32 s18, s2, 8
	s_addc_u32 s19, s3, 0
.LBB0_2:                                ; =>This Inner Loop Header: Depth=1
	s_load_dwordx2 s[20:21], s[18:19], 0x0
                                        ; implicit-def: $vgpr8_vgpr9
	s_waitcnt lgkmcnt(0)
	v_or_b32_e32 v5, s21, v7
	v_cmp_ne_u64_e32 vcc, 0, v[4:5]
	s_and_saveexec_b64 s[2:3], vcc
	s_xor_b64 s[22:23], exec, s[2:3]
	s_cbranch_execz .LBB0_4
; %bb.3:                                ;   in Loop: Header=BB0_2 Depth=1
	v_cvt_f32_u32_e32 v1, s20
	v_cvt_f32_u32_e32 v5, s21
	s_sub_u32 s2, 0, s20
	s_subb_u32 s3, 0, s21
	v_fmac_f32_e32 v1, 0x4f800000, v5
	v_rcp_f32_e32 v1, v1
	s_nop 0
	v_mul_f32_e32 v1, 0x5f7ffffc, v1
	v_mul_f32_e32 v5, 0x2f800000, v1
	v_trunc_f32_e32 v5, v5
	v_fmac_f32_e32 v1, 0xcf800000, v5
	v_cvt_u32_f32_e32 v5, v5
	v_cvt_u32_f32_e32 v1, v1
	v_mul_lo_u32 v8, s2, v5
	v_mul_hi_u32 v10, s2, v1
	v_mul_lo_u32 v9, s3, v1
	v_add_u32_e32 v10, v10, v8
	v_mul_lo_u32 v12, s2, v1
	v_add_u32_e32 v13, v10, v9
	v_mul_hi_u32 v8, v1, v12
	v_mul_hi_u32 v11, v1, v13
	v_mul_lo_u32 v10, v1, v13
	v_mov_b32_e32 v9, v4
	v_lshl_add_u64 v[8:9], v[8:9], 0, v[10:11]
	v_mul_hi_u32 v11, v5, v12
	v_mul_lo_u32 v12, v5, v12
	v_add_co_u32_e32 v8, vcc, v8, v12
	v_mul_hi_u32 v10, v5, v13
	s_nop 0
	v_addc_co_u32_e32 v8, vcc, v9, v11, vcc
	v_mov_b32_e32 v9, v4
	s_nop 0
	v_addc_co_u32_e32 v11, vcc, 0, v10, vcc
	v_mul_lo_u32 v10, v5, v13
	v_lshl_add_u64 v[8:9], v[8:9], 0, v[10:11]
	v_add_co_u32_e32 v1, vcc, v1, v8
	v_mul_lo_u32 v10, s2, v1
	s_nop 0
	v_addc_co_u32_e32 v5, vcc, v5, v9, vcc
	v_mul_lo_u32 v8, s2, v5
	v_mul_hi_u32 v9, s2, v1
	v_add_u32_e32 v8, v9, v8
	v_mul_lo_u32 v9, s3, v1
	v_add_u32_e32 v12, v8, v9
	v_mul_hi_u32 v14, v5, v10
	v_mul_lo_u32 v15, v5, v10
	v_mul_hi_u32 v9, v1, v12
	v_mul_lo_u32 v8, v1, v12
	v_mul_hi_u32 v10, v1, v10
	v_mov_b32_e32 v11, v4
	v_lshl_add_u64 v[8:9], v[10:11], 0, v[8:9]
	v_add_co_u32_e32 v8, vcc, v8, v15
	v_mul_hi_u32 v13, v5, v12
	s_nop 0
	v_addc_co_u32_e32 v8, vcc, v9, v14, vcc
	v_mul_lo_u32 v10, v5, v12
	s_nop 0
	v_addc_co_u32_e32 v11, vcc, 0, v13, vcc
	v_mov_b32_e32 v9, v4
	v_lshl_add_u64 v[8:9], v[8:9], 0, v[10:11]
	v_add_co_u32_e32 v1, vcc, v1, v8
	v_mul_hi_u32 v10, v6, v1
	s_nop 0
	v_addc_co_u32_e32 v5, vcc, v5, v9, vcc
	v_mad_u64_u32 v[8:9], s[2:3], v6, v5, 0
	v_mov_b32_e32 v11, v4
	v_lshl_add_u64 v[8:9], v[10:11], 0, v[8:9]
	v_mad_u64_u32 v[12:13], s[2:3], v7, v1, 0
	v_add_co_u32_e32 v1, vcc, v8, v12
	v_mad_u64_u32 v[10:11], s[2:3], v7, v5, 0
	s_nop 0
	v_addc_co_u32_e32 v8, vcc, v9, v13, vcc
	v_mov_b32_e32 v9, v4
	s_nop 0
	v_addc_co_u32_e32 v11, vcc, 0, v11, vcc
	v_lshl_add_u64 v[8:9], v[8:9], 0, v[10:11]
	v_mul_lo_u32 v1, s21, v8
	v_mul_lo_u32 v5, s20, v9
	v_mad_u64_u32 v[10:11], s[2:3], s20, v8, 0
	v_add3_u32 v1, v11, v5, v1
	v_sub_u32_e32 v5, v7, v1
	v_mov_b32_e32 v11, s21
	v_sub_co_u32_e32 v14, vcc, v6, v10
	v_lshl_add_u64 v[12:13], v[8:9], 0, 1
	s_nop 0
	v_subb_co_u32_e64 v5, s[2:3], v5, v11, vcc
	v_subrev_co_u32_e64 v10, s[2:3], s20, v14
	v_subb_co_u32_e32 v1, vcc, v7, v1, vcc
	s_nop 0
	v_subbrev_co_u32_e64 v5, s[2:3], 0, v5, s[2:3]
	v_cmp_le_u32_e64 s[2:3], s21, v5
	v_cmp_le_u32_e32 vcc, s21, v1
	s_nop 0
	v_cndmask_b32_e64 v11, 0, -1, s[2:3]
	v_cmp_le_u32_e64 s[2:3], s20, v10
	s_nop 1
	v_cndmask_b32_e64 v10, 0, -1, s[2:3]
	v_cmp_eq_u32_e64 s[2:3], s21, v5
	s_nop 1
	v_cndmask_b32_e64 v5, v11, v10, s[2:3]
	v_lshl_add_u64 v[10:11], v[8:9], 0, 2
	v_cmp_ne_u32_e64 s[2:3], 0, v5
	s_nop 1
	v_cndmask_b32_e64 v5, v13, v11, s[2:3]
	v_cndmask_b32_e64 v11, 0, -1, vcc
	v_cmp_le_u32_e32 vcc, s20, v14
	s_nop 1
	v_cndmask_b32_e64 v13, 0, -1, vcc
	v_cmp_eq_u32_e32 vcc, s21, v1
	s_nop 1
	v_cndmask_b32_e32 v1, v11, v13, vcc
	v_cmp_ne_u32_e32 vcc, 0, v1
	v_cndmask_b32_e64 v1, v12, v10, s[2:3]
	s_nop 0
	v_cndmask_b32_e32 v9, v9, v5, vcc
	v_cndmask_b32_e32 v8, v8, v1, vcc
.LBB0_4:                                ;   in Loop: Header=BB0_2 Depth=1
	s_andn2_saveexec_b64 s[2:3], s[22:23]
	s_cbranch_execz .LBB0_6
; %bb.5:                                ;   in Loop: Header=BB0_2 Depth=1
	v_cvt_f32_u32_e32 v1, s20
	s_sub_i32 s22, 0, s20
	v_rcp_iflag_f32_e32 v1, v1
	s_nop 0
	v_mul_f32_e32 v1, 0x4f7ffffe, v1
	v_cvt_u32_f32_e32 v1, v1
	v_mul_lo_u32 v5, s22, v1
	v_mul_hi_u32 v5, v1, v5
	v_add_u32_e32 v1, v1, v5
	v_mul_hi_u32 v1, v6, v1
	v_mul_lo_u32 v5, v1, s20
	v_sub_u32_e32 v5, v6, v5
	v_add_u32_e32 v8, 1, v1
	v_subrev_u32_e32 v9, s20, v5
	v_cmp_le_u32_e32 vcc, s20, v5
	s_nop 1
	v_cndmask_b32_e32 v5, v5, v9, vcc
	v_cndmask_b32_e32 v1, v1, v8, vcc
	v_add_u32_e32 v8, 1, v1
	v_cmp_le_u32_e32 vcc, s20, v5
	v_mov_b32_e32 v9, v4
	s_nop 0
	v_cndmask_b32_e32 v8, v1, v8, vcc
.LBB0_6:                                ;   in Loop: Header=BB0_2 Depth=1
	s_or_b64 exec, exec, s[2:3]
	v_mad_u64_u32 v[10:11], s[2:3], v8, s20, 0
	s_load_dwordx2 s[2:3], s[14:15], 0x0
	v_mul_lo_u32 v1, v9, s20
	v_mul_lo_u32 v5, v8, s21
	v_add3_u32 v1, v11, v5, v1
	v_sub_co_u32_e32 v5, vcc, v6, v10
	s_add_u32 s16, s16, 1
	s_nop 0
	v_subb_co_u32_e32 v1, vcc, v7, v1, vcc
	s_addc_u32 s17, s17, 0
	s_waitcnt lgkmcnt(0)
	v_mul_lo_u32 v1, s2, v1
	v_mul_lo_u32 v6, s3, v5
	v_mad_u64_u32 v[2:3], s[2:3], s2, v5, v[2:3]
	s_add_u32 s14, s14, 8
	v_add3_u32 v3, v6, v3, v1
	s_addc_u32 s15, s15, 0
	v_mov_b64_e32 v[6:7], s[6:7]
	s_add_u32 s18, s18, 8
	v_cmp_ge_u64_e32 vcc, s[16:17], v[6:7]
	s_addc_u32 s19, s19, 0
	s_cbranch_vccnz .LBB0_9
; %bb.7:                                ;   in Loop: Header=BB0_2 Depth=1
	v_mov_b64_e32 v[6:7], v[8:9]
	s_branch .LBB0_2
.LBB0_8:
	v_mov_b64_e32 v[8:9], v[6:7]
.LBB0_9:
	s_lshl_b64 s[2:3], s[6:7], 3
	s_add_u32 s2, s12, s2
	s_addc_u32 s3, s13, s3
	s_load_dwordx2 s[6:7], s[2:3], 0x0
	s_load_dwordx2 s[12:13], s[0:1], 0x20
	s_mov_b32 s2, 0x4104105
                                        ; implicit-def: $vgpr116_vgpr117
                                        ; implicit-def: $vgpr118_vgpr119
                                        ; implicit-def: $vgpr156
                                        ; implicit-def: $vgpr155
                                        ; implicit-def: $vgpr153
                                        ; implicit-def: $vgpr125
                                        ; implicit-def: $vgpr120
                                        ; implicit-def: $vgpr121
                                        ; implicit-def: $vgpr124
	s_waitcnt lgkmcnt(0)
	v_mul_lo_u32 v1, s6, v9
	v_mul_lo_u32 v4, s7, v8
	v_mad_u64_u32 v[2:3], s[0:1], s6, v8, v[2:3]
	v_add3_u32 v3, v4, v3, v1
	v_mul_hi_u32 v1, v0, s2
	v_mul_u32_u24_e32 v1, 63, v1
	v_sub_u32_e32 v152, v0, v1
	v_cmp_gt_u64_e32 vcc, s[12:13], v[8:9]
	v_cmp_le_u64_e64 s[0:1], s[12:13], v[8:9]
	v_add_u32_e32 v154, 63, v152
	s_and_saveexec_b64 s[2:3], s[0:1]
	s_xor_b64 s[0:1], exec, s[2:3]
; %bb.10:
	v_add_u32_e32 v156, 63, v152
	v_add_u32_e32 v155, 0x7e, v152
	;; [unrolled: 1-line block ×11, first 2 shown]
; %bb.11:
	s_or_saveexec_b64 s[0:1], s[0:1]
	v_lshl_add_u64 v[136:137], v[2:3], 4, s[10:11]
                                        ; implicit-def: $vgpr38_vgpr39
                                        ; implicit-def: $vgpr30_vgpr31
                                        ; implicit-def: $vgpr50_vgpr51
                                        ; implicit-def: $vgpr46_vgpr47
                                        ; implicit-def: $vgpr58_vgpr59
                                        ; implicit-def: $vgpr54_vgpr55
                                        ; implicit-def: $vgpr66_vgpr67
                                        ; implicit-def: $vgpr62_vgpr63
                                        ; implicit-def: $vgpr78_vgpr79
                                        ; implicit-def: $vgpr2_vgpr3
                                        ; implicit-def: $vgpr10_vgpr11
                                        ; implicit-def: $vgpr6_vgpr7
                                        ; implicit-def: $vgpr18_vgpr19
                                        ; implicit-def: $vgpr14_vgpr15
                                        ; implicit-def: $vgpr26_vgpr27
                                        ; implicit-def: $vgpr22_vgpr23
                                        ; implicit-def: $vgpr42_vgpr43
                                        ; implicit-def: $vgpr34_vgpr35
                                        ; implicit-def: $vgpr74_vgpr75
                                        ; implicit-def: $vgpr70_vgpr71
                                        ; implicit-def: $vgpr86_vgpr87
                                        ; implicit-def: $vgpr82_vgpr83
                                        ; implicit-def: $vgpr94_vgpr95
                                        ; implicit-def: $vgpr90_vgpr91
	s_xor_b64 exec, exec, s[0:1]
	s_cbranch_execz .LBB0_13
; %bb.12:
	v_mad_u64_u32 v[0:1], s[2:3], s8, v152, 0
	v_mov_b32_e32 v2, v1
	v_mad_u64_u32 v[2:3], s[2:3], s9, v152, v[2:3]
	v_add_u32_e32 v5, 0x2f4, v152
	v_mov_b32_e32 v1, v2
	v_mad_u64_u32 v[2:3], s[2:3], s8, v5, 0
	v_mov_b32_e32 v4, v3
	v_mad_u64_u32 v[4:5], s[2:3], s9, v5, v[4:5]
	v_mov_b32_e32 v3, v4
	v_mad_u64_u32 v[4:5], s[2:3], s8, v154, 0
	v_mov_b32_e32 v6, v5
	v_mad_u64_u32 v[6:7], s[2:3], s9, v154, v[6:7]
	v_add_u32_e32 v9, 0x333, v152
	v_mov_b32_e32 v5, v6
	v_mad_u64_u32 v[6:7], s[2:3], s8, v9, 0
	v_mov_b32_e32 v8, v7
	v_mad_u64_u32 v[8:9], s[2:3], s9, v9, v[8:9]
	v_add_u32_e32 v155, 0x7e, v152
	v_mov_b32_e32 v7, v8
	v_mad_u64_u32 v[8:9], s[2:3], s8, v155, 0
	v_mov_b32_e32 v10, v9
	v_mad_u64_u32 v[10:11], s[2:3], s9, v155, v[10:11]
	;; [unrolled: 5-line block ×6, first 2 shown]
	v_add_u32_e32 v21, 0x3f0, v152
	v_mov_b32_e32 v17, v18
	v_mad_u64_u32 v[18:19], s[2:3], s8, v21, 0
	v_mov_b32_e32 v20, v19
	v_add_u32_e32 v119, 0x13b, v152
	v_mad_u64_u32 v[20:21], s[2:3], s9, v21, v[20:21]
	v_mov_b32_e32 v19, v20
	v_mad_u64_u32 v[20:21], s[2:3], s8, v119, 0
	v_mov_b32_e32 v22, v21
	v_mad_u64_u32 v[22:23], s[2:3], s9, v119, v[22:23]
	v_add_u32_e32 v25, 0x42f, v152
	v_mov_b32_e32 v21, v22
	v_mad_u64_u32 v[22:23], s[2:3], s8, v25, 0
	v_mov_b32_e32 v24, v23
	v_mad_u64_u32 v[24:25], s[2:3], s9, v25, v[24:25]
	v_add_u32_e32 v116, 0x17a, v152
	;; [unrolled: 5-line block ×3, first 2 shown]
	v_mov_b32_e32 v25, v26
	v_mad_u64_u32 v[26:27], s[2:3], s8, v29, 0
	v_mov_b32_e32 v28, v27
	v_add_u32_e32 v117, 0x1b9, v152
	v_mad_u64_u32 v[28:29], s[2:3], s9, v29, v[28:29]
	v_mov_b32_e32 v27, v28
	v_mad_u64_u32 v[28:29], s[2:3], s8, v117, 0
	v_mov_b32_e32 v30, v29
	v_mad_u64_u32 v[30:31], s[2:3], s9, v117, v[30:31]
	v_add_u32_e32 v33, 0x4ad, v152
	v_mov_b32_e32 v29, v30
	v_mad_u64_u32 v[30:31], s[2:3], s8, v33, 0
	v_mov_b32_e32 v32, v31
	v_mad_u64_u32 v[32:33], s[2:3], s9, v33, v[32:33]
	v_add_u32_e32 v125, 0x1f8, v152
	;; [unrolled: 5-line block ×9, first 2 shown]
	v_mov_b32_e32 v45, v46
	v_mad_u64_u32 v[46:47], s[2:3], s8, v49, 0
	v_mov_b32_e32 v48, v47
	v_mad_u64_u32 v[48:49], s[2:3], s9, v49, v[48:49]
	v_mov_b32_e32 v47, v48
	v_lshl_add_u64 v[48:49], v[0:1], 4, v[136:137]
	v_lshl_add_u64 v[50:51], v[2:3], 4, v[136:137]
	;; [unrolled: 1-line block ×24, first 2 shown]
	global_load_dwordx4 v[88:91], v[48:49], off
	global_load_dwordx4 v[92:95], v[50:51], off
	;; [unrolled: 1-line block ×15, first 2 shown]
                                        ; kill: killed $vgpr58_vgpr59
                                        ; kill: killed $vgpr54_vgpr55
                                        ; kill: killed $vgpr50_vgpr51
                                        ; kill: killed $vgpr28_vgpr29
                                        ; kill: killed $vgpr64_vgpr65
                                        ; kill: killed $vgpr98_vgpr99
                                        ; kill: killed $vgpr60_vgpr61
                                        ; kill: killed $vgpr56_vgpr57
                                        ; kill: killed $vgpr52_vgpr53
                                        ; kill: killed $vgpr48_vgpr49
                                        ; kill: killed $vgpr78_vgpr79
                                        ; kill: killed $vgpr96_vgpr97
                                        ; kill: killed $vgpr76_vgpr77
                                        ; kill: killed $vgpr66_vgpr67
                                        ; kill: killed $vgpr62_vgpr63
	s_nop 0
	global_load_dwordx4 v[76:79], v[100:101], off
	global_load_dwordx4 v[60:63], v[102:103], off
	;; [unrolled: 1-line block ×9, first 2 shown]
	v_mov_b32_e32 v156, v154
.LBB0_13:
	s_or_b64 exec, exec, s[0:1]
	s_waitcnt vmcnt(22)
	v_add_f64 v[98:99], v[88:89], -v[92:93]
	s_waitcnt vmcnt(18)
	v_add_f64 v[102:103], v[68:69], -v[72:73]
	v_add_f64 v[94:95], v[90:91], -v[94:95]
	v_fma_f64 v[96:97], v[88:89], 2.0, -v[98:99]
	v_fma_f64 v[100:101], v[68:69], 2.0, -v[102:103]
	v_lshl_add_u32 v68, v152, 4, 0
	v_fma_f64 v[92:93], v[90:91], 2.0, -v[94:95]
	v_add_f64 v[90:91], v[80:81], -v[84:85]
	s_waitcnt vmcnt(16)
	v_add_f64 v[106:107], v[32:33], -v[40:41]
	ds_write_b128 v68, v[96:99]
	s_waitcnt vmcnt(14)
	v_add_f64 v[98:99], v[20:21], -v[24:25]
	v_fma_f64 v[88:89], v[80:81], 2.0, -v[90:91]
	v_fma_f64 v[104:105], v[32:33], 2.0, -v[106:107]
	;; [unrolled: 1-line block ×3, first 2 shown]
	v_lshl_add_u32 v69, v156, 4, 0
	v_lshl_add_u32 v80, v155, 4, 0
	;; [unrolled: 1-line block ×4, first 2 shown]
	ds_write_b128 v69, v[88:91]
	ds_write_b128 v80, v[100:103]
	;; [unrolled: 1-line block ×4, first 2 shown]
	s_waitcnt vmcnt(8)
	v_add_f64 v[98:99], v[0:1], -v[76:77]
	v_fma_f64 v[96:97], v[0:1], 2.0, -v[98:99]
	v_lshlrev_b32_e32 v0, 3, v118
	v_lshl_add_u32 v130, v119, 4, 0
	v_sub_u32_e32 v126, v129, v0
	v_lshlrev_b32_e32 v0, 3, v119
	v_add_f64 v[90:91], v[12:13], -v[16:17]
	v_lshl_add_u32 v131, v116, 4, 0
	v_sub_u32_e32 v127, v130, v0
	v_lshlrev_b32_e32 v0, 3, v116
	v_fma_f64 v[88:89], v[12:13], 2.0, -v[90:91]
	v_add_f64 v[102:103], v[4:5], -v[8:9]
	v_lshl_add_u32 v132, v117, 4, 0
	v_sub_u32_e32 v138, v131, v0
	v_lshlrev_b32_e32 v0, 3, v117
	v_fma_f64 v[100:101], v[4:5], 2.0, -v[102:103]
	ds_write_b128 v130, v[88:91]
	s_waitcnt vmcnt(6)
	v_add_f64 v[90:91], v[60:61], -v[64:65]
	v_lshl_add_u32 v133, v125, 4, 0
	v_sub_u32_e32 v122, v132, v0
	v_lshlrev_b32_e32 v0, 3, v125
	v_fma_f64 v[88:89], v[60:61], 2.0, -v[90:91]
	ds_write_b128 v131, v[100:103]
	s_waitcnt vmcnt(4)
	v_add_f64 v[102:103], v[52:53], -v[56:57]
	v_lshl_add_u32 v134, v120, 4, 0
	v_sub_u32_e32 v123, v133, v0
	v_lshlrev_b32_e32 v0, 3, v120
	v_fma_f64 v[100:101], v[52:53], 2.0, -v[102:103]
	ds_write_b128 v132, v[96:99]
	ds_write_b128 v133, v[88:91]
	s_waitcnt vmcnt(2)
	v_add_f64 v[90:91], v[44:45], -v[48:49]
	s_waitcnt vmcnt(0)
	v_add_f64 v[98:99], v[28:29], -v[36:37]
	v_lshl_add_u32 v135, v121, 4, 0
	v_sub_u32_e32 v52, v134, v0
	v_lshlrev_b32_e32 v0, 3, v121
	v_add_f64 v[84:85], v[82:83], -v[86:87]
	v_add_f64 v[72:73], v[70:71], -v[74:75]
	v_fma_f64 v[88:89], v[44:45], 2.0, -v[90:91]
	v_fma_f64 v[96:97], v[28:29], 2.0, -v[98:99]
	v_lshl_add_u32 v139, v124, 4, 0
	v_sub_u32_e32 v53, v135, v0
	v_lshlrev_b32_e32 v0, 3, v124
	v_lshl_add_u32 v157, v152, 3, 0
	v_lshlrev_b32_e32 v164, 3, v153
	v_fma_f64 v[82:83], v[82:83], 2.0, -v[84:85]
	v_fma_f64 v[70:71], v[70:71], 2.0, -v[72:73]
	ds_write_b128 v134, v[100:103]
	ds_write_b128 v135, v[88:91]
	;; [unrolled: 1-line block ×3, first 2 shown]
	s_waitcnt lgkmcnt(0)
	; wave barrier
	s_waitcnt lgkmcnt(0)
	v_sub_u32_e32 v56, v139, v0
	v_add_u32_e32 v158, 0x1400, v157
	v_lshl_add_u32 v150, v156, 3, 0
	v_lshl_add_u32 v151, v155, 3, 0
	v_add_u32_e32 v160, 0x1800, v157
	v_sub_u32_e32 v128, v163, v164
	v_add_u32_e32 v161, 0x1c00, v157
	v_add_u32_e32 v159, 0x2000, v157
	;; [unrolled: 1-line block ×4, first 2 shown]
	ds_read_b64 v[44:45], v157
	ds_read_b64 v[40:41], v150
	ds_read_b64 v[36:37], v151
	ds_read_b64 v[32:33], v128
	ds_read_b64 v[28:29], v126
	ds_read_b64 v[24:25], v127
	ds_read_b64 v[20:21], v138
	ds_read_b64 v[16:17], v122
	ds_read_b64 v[12:13], v123
	ds_read_b64 v[8:9], v52
	ds_read_b64 v[4:5], v53
	ds_read_b64 v[0:1], v56
	ds_read2_b64 v[112:115], v158 offset0:116 offset1:179
	ds_read2_b64 v[108:111], v160 offset0:114 offset1:177
	;; [unrolled: 1-line block ×6, first 2 shown]
	s_waitcnt lgkmcnt(0)
	; wave barrier
	s_waitcnt lgkmcnt(0)
	ds_write_b128 v68, v[92:95]
	ds_write_b128 v69, v[82:85]
	;; [unrolled: 1-line block ×3, first 2 shown]
	v_add_f64 v[70:71], v[34:35], -v[42:43]
	v_fma_f64 v[68:69], v[34:35], 2.0, -v[70:71]
	v_add_f64 v[74:75], v[22:23], -v[26:27]
	v_add_f64 v[82:83], v[14:15], -v[18:19]
	;; [unrolled: 1-line block ×8, first 2 shown]
	v_fma_f64 v[72:73], v[22:23], 2.0, -v[74:75]
	v_fma_f64 v[80:81], v[14:15], 2.0, -v[82:83]
	;; [unrolled: 1-line block ×8, first 2 shown]
	ds_write_b128 v163, v[68:71]
	ds_write_b128 v129, v[72:75]
	;; [unrolled: 1-line block ×9, first 2 shown]
	v_and_b32_e32 v129, 1, v156
	v_lshlrev_b32_e32 v2, 4, v129
	v_and_b32_e32 v130, 1, v152
	s_waitcnt lgkmcnt(0)
	; wave barrier
	s_waitcnt lgkmcnt(0)
	global_load_dwordx4 v[46:49], v2, s[4:5]
	v_lshlrev_b32_e32 v2, 4, v130
	v_and_b32_e32 v131, 1, v153
	global_load_dwordx4 v[58:61], v2, s[4:5]
	v_lshlrev_b32_e32 v2, 4, v131
	global_load_dwordx4 v[62:65], v2, s[4:5]
	v_and_b32_e32 v132, 1, v119
	v_lshlrev_b32_e32 v2, 4, v132
	v_and_b32_e32 v133, 1, v117
	global_load_dwordx4 v[66:69], v2, s[4:5]
	v_lshlrev_b32_e32 v2, 4, v133
	global_load_dwordx4 v[70:73], v2, s[4:5]
	v_and_b32_e32 v134, 1, v120
	v_lshlrev_b32_e32 v2, 4, v134
	v_and_b32_e32 v135, 1, v124
	global_load_dwordx4 v[74:77], v2, s[4:5]
	v_lshlrev_b32_e32 v2, 4, v135
	global_load_dwordx4 v[78:81], v2, s[4:5]
	ds_read2_b64 v[82:85], v158 offset0:116 offset1:179
	ds_read2_b64 v[92:95], v160 offset0:114 offset1:177
	s_movk_i32 s0, 0x7c
	s_movk_i32 s1, 0x2fc
	v_and_b32_e32 v139, 3, v119
	v_add_u32_e32 v165, 0x1000, v157
	s_mov_b32 s2, 0xe8584caa
	s_mov_b32 s3, 0xbfebb67a
	;; [unrolled: 1-line block ×4, first 2 shown]
	s_waitcnt vmcnt(6) lgkmcnt(1)
	v_mul_f64 v[2:3], v[84:85], v[48:49]
	v_mul_f64 v[6:7], v[114:115], v[48:49]
	v_fmac_f64_e32 v[2:3], v[114:115], v[46:47]
	v_fma_f64 v[84:85], v[84:85], v[46:47], -v[6:7]
	ds_read2_b64 v[46:49], v161 offset0:112 offset1:175
	s_waitcnt vmcnt(5)
	v_mul_f64 v[10:11], v[112:113], v[60:61]
	s_waitcnt vmcnt(4) lgkmcnt(1)
	v_mul_f64 v[14:15], v[94:95], v[64:65]
	v_mul_f64 v[18:19], v[110:111], v[64:65]
	;; [unrolled: 1-line block ×3, first 2 shown]
	v_fma_f64 v[10:11], v[82:83], v[58:59], -v[10:11]
	v_fmac_f64_e32 v[14:15], v[110:111], v[62:63]
	v_fma_f64 v[82:83], v[94:95], v[62:63], -v[18:19]
	ds_read2_b64 v[62:65], v159 offset0:110 offset1:173
	v_mul_f64 v[22:23], v[108:109], v[60:61]
	v_fma_f64 v[86:87], v[92:93], v[58:59], -v[22:23]
	s_waitcnt vmcnt(3) lgkmcnt(1)
	v_mul_f64 v[22:23], v[48:49], v[68:69]
	v_mul_f64 v[26:27], v[106:107], v[68:69]
	;; [unrolled: 1-line block ×4, first 2 shown]
	v_fmac_f64_e32 v[22:23], v[106:107], v[66:67]
	v_fma_f64 v[66:67], v[48:49], v[66:67], -v[26:27]
	ds_read2_b64 v[48:51], v57 offset0:108 offset1:171
	v_mul_f64 v[30:31], v[104:105], v[60:61]
	s_waitcnt lgkmcnt(1)
	v_fma_f64 v[92:93], v[62:63], v[58:59], -v[34:35]
	s_waitcnt vmcnt(2)
	v_mul_f64 v[34:35], v[64:65], v[72:73]
	v_mul_f64 v[38:39], v[102:103], v[72:73]
	v_fma_f64 v[68:69], v[46:47], v[58:59], -v[30:31]
	v_mul_f64 v[30:31], v[62:63], v[60:61]
	v_fmac_f64_e32 v[34:35], v[102:103], v[70:71]
	v_fma_f64 v[70:71], v[64:65], v[70:71], -v[38:39]
	ds_read2_b64 v[62:65], v162 offset0:106 offset1:169
	v_fmac_f64_e32 v[6:7], v[112:113], v[58:59]
	s_waitcnt vmcnt(1)
	v_mul_f64 v[54:55], v[98:99], v[76:77]
	v_mul_f64 v[26:27], v[46:47], v[60:61]
	;; [unrolled: 1-line block ×3, first 2 shown]
	s_waitcnt lgkmcnt(1)
	v_mul_f64 v[46:47], v[50:51], v[76:77]
	v_fma_f64 v[72:73], v[50:51], v[74:75], -v[54:55]
	s_waitcnt vmcnt(0)
	v_mul_f64 v[50:51], v[90:91], v[80:81]
	v_add_f64 v[6:7], v[44:45], -v[6:7]
	v_mul_f64 v[38:39], v[48:49], v[60:61]
	v_fmac_f64_e32 v[46:47], v[98:99], v[74:75]
	v_fma_f64 v[74:75], v[48:49], v[58:59], -v[42:43]
	s_waitcnt lgkmcnt(0)
	v_mul_f64 v[42:43], v[62:63], v[60:61]
	v_mul_f64 v[48:49], v[88:89], v[60:61]
	v_fma_f64 v[60:61], v[64:65], v[78:79], -v[50:51]
	v_fma_f64 v[50:51], v[44:45], 2.0, -v[6:7]
	v_lshlrev_b32_e32 v44, 1, v152
	v_and_or_b32 v45, v44, s0, v130
	v_fmac_f64_e32 v[18:19], v[108:109], v[58:59]
	v_fmac_f64_e32 v[26:27], v[104:105], v[58:59]
	v_fmac_f64_e32 v[30:31], v[100:101], v[58:59]
	v_fmac_f64_e32 v[38:39], v[96:97], v[58:59]
	v_fmac_f64_e32 v[42:43], v[88:89], v[58:59]
	v_fma_f64 v[58:59], v[62:63], v[58:59], -v[48:49]
	v_mul_f64 v[48:49], v[64:65], v[80:81]
	v_lshl_add_u32 v55, v45, 3, 0
	v_add_f64 v[2:3], v[40:41], -v[2:3]
	s_movk_i32 s0, 0xfc
	v_lshlrev_b32_e32 v112, 1, v156
	v_fmac_f64_e32 v[48:49], v[90:91], v[78:79]
	ds_read_b64 v[62:63], v157
	ds_read_b64 v[64:65], v150
	;; [unrolled: 1-line block ×12, first 2 shown]
	s_waitcnt lgkmcnt(0)
	; wave barrier
	s_waitcnt lgkmcnt(0)
	ds_write2_b64 v55, v[50:51], v[6:7] offset1:2
	v_fma_f64 v[6:7], v[40:41], 2.0, -v[2:3]
	v_and_or_b32 v40, v112, s0, v129
	v_lshl_add_u32 v106, v40, 3, 0
	s_movk_i32 s0, 0x1fc
	v_lshlrev_b32_e32 v113, 1, v155
	ds_write2_b64 v106, v[6:7], v[2:3] offset1:2
	v_add_f64 v[2:3], v[36:37], -v[18:19]
	v_and_or_b32 v18, v113, s0, v130
	v_fma_f64 v[6:7], v[36:37], 2.0, -v[2:3]
	v_lshl_add_u32 v107, v18, 3, 0
	v_lshlrev_b32_e32 v114, 1, v153
	ds_write2_b64 v107, v[6:7], v[2:3] offset1:2
	v_add_f64 v[2:3], v[32:33], -v[14:15]
	v_and_or_b32 v14, v114, s0, v131
	v_fma_f64 v[6:7], v[32:33], 2.0, -v[2:3]
	v_lshl_add_u32 v108, v14, 3, 0
	s_movk_i32 s0, 0x3fc
	v_lshlrev_b32_e32 v115, 1, v118
	ds_write2_b64 v108, v[6:7], v[2:3] offset1:2
	v_add_f64 v[2:3], v[28:29], -v[26:27]
	v_and_or_b32 v14, v115, s0, v130
	v_fma_f64 v[6:7], v[28:29], 2.0, -v[2:3]
	v_lshl_add_u32 v109, v14, 3, 0
	v_lshlrev_b32_e32 v129, 1, v119
	ds_write2_b64 v109, v[6:7], v[2:3] offset1:2
	v_add_f64 v[2:3], v[24:25], -v[22:23]
	v_and_or_b32 v14, v129, s1, v132
	v_fma_f64 v[6:7], v[24:25], 2.0, -v[2:3]
	v_lshl_add_u32 v110, v14, 3, 0
	v_lshlrev_b32_e32 v131, 1, v116
	ds_write2_b64 v110, v[6:7], v[2:3] offset1:2
	v_add_f64 v[2:3], v[20:21], -v[30:31]
	v_and_or_b32 v14, v131, s0, v130
	v_lshlrev_b32_e32 v132, 1, v117
	v_fma_f64 v[6:7], v[20:21], 2.0, -v[2:3]
	v_lshl_add_u32 v111, v14, 3, 0
	ds_write2_b64 v111, v[6:7], v[2:3] offset1:2
	v_add_f64 v[2:3], v[16:17], -v[34:35]
	v_and_or_b32 v20, v132, s0, v133
	v_lshlrev_b32_e32 v51, 1, v125
	v_fma_f64 v[6:7], v[16:17], 2.0, -v[2:3]
	v_lshl_add_u32 v125, v20, 3, 0
	s_movk_i32 s0, 0x7fc
	v_lshlrev_b32_e32 v54, 1, v120
	ds_write2_b64 v125, v[6:7], v[2:3] offset1:2
	v_and_or_b32 v2, v51, s0, v130
	s_movk_i32 s0, 0x4fc
	v_lshlrev_b32_e32 v50, 1, v121
	v_lshl_add_u32 v133, v2, 3, 0
	v_and_or_b32 v2, v54, s0, v134
	s_movk_i32 s0, 0x5fc
	v_lshlrev_b32_e32 v45, 1, v124
	v_lshl_add_u32 v134, v2, 3, 0
	v_and_or_b32 v2, v50, s0, v130
	v_add_f64 v[104:105], v[62:63], -v[10:11]
	v_add_f64 v[10:11], v[12:13], -v[38:39]
	;; [unrolled: 1-line block ×5, first 2 shown]
	v_lshl_add_u32 v130, v2, 3, 0
	v_and_or_b32 v2, v45, s0, v135
	v_fma_f64 v[62:63], v[62:63], 2.0, -v[104:105]
	v_fma_f64 v[12:13], v[12:13], 2.0, -v[10:11]
	;; [unrolled: 1-line block ×5, first 2 shown]
	v_lshl_add_u32 v135, v2, 3, 0
	ds_write2_b64 v133, v[12:13], v[10:11] offset1:2
	ds_write2_b64 v134, v[8:9], v[14:15] offset1:2
	;; [unrolled: 1-line block ×4, first 2 shown]
	s_waitcnt lgkmcnt(0)
	; wave barrier
	s_waitcnt lgkmcnt(0)
	ds_read_b64 v[48:49], v157
	ds_read_b64 v[46:47], v150
	;; [unrolled: 1-line block ×12, first 2 shown]
	ds_read2_b64 v[12:15], v158 offset0:116 offset1:179
	ds_read2_b64 v[20:23], v160 offset0:114 offset1:177
	ds_read2_b64 v[8:11], v161 offset0:112 offset1:175
	ds_read2_b64 v[16:19], v159 offset0:110 offset1:173
	ds_read2_b64 v[4:7], v57 offset0:108 offset1:171
	ds_read2_b64 v[0:3], v162 offset0:106 offset1:169
	s_waitcnt lgkmcnt(0)
	; wave barrier
	s_waitcnt lgkmcnt(0)
	ds_write2_b64 v55, v[62:63], v[104:105] offset1:2
	v_add_f64 v[62:63], v[64:65], -v[84:85]
	v_fma_f64 v[64:65], v[64:65], 2.0, -v[62:63]
	ds_write2_b64 v106, v[64:65], v[62:63] offset1:2
	v_add_f64 v[62:63], v[76:77], -v[86:87]
	v_fma_f64 v[64:65], v[76:77], 2.0, -v[62:63]
	;; [unrolled: 3-line block ×6, first 2 shown]
	v_add_f64 v[66:67], v[94:95], -v[70:71]
	v_add_f64 v[70:71], v[96:97], -v[74:75]
	;; [unrolled: 1-line block ×5, first 2 shown]
	v_and_b32_e32 v55, 3, v155
	v_fma_f64 v[68:69], v[94:95], 2.0, -v[66:67]
	v_fma_f64 v[74:75], v[96:97], 2.0, -v[70:71]
	;; [unrolled: 1-line block ×5, first 2 shown]
	ds_write2_b64 v111, v[64:65], v[62:63] offset1:2
	ds_write2_b64 v125, v[68:69], v[66:67] offset1:2
	;; [unrolled: 1-line block ×6, first 2 shown]
	v_lshlrev_b32_e32 v58, 4, v55
	s_waitcnt lgkmcnt(0)
	; wave barrier
	s_waitcnt lgkmcnt(0)
	global_load_dwordx4 v[58:61], v58, s[4:5] offset:32
	v_and_b32_e32 v125, 3, v153
	v_lshlrev_b32_e32 v62, 4, v125
	global_load_dwordx4 v[62:65], v62, s[4:5] offset:32
	v_and_b32_e32 v130, 3, v116
	v_lshlrev_b32_e32 v66, 4, v130
	;; [unrolled: 3-line block ×5, first 2 shown]
	global_load_dwordx4 v[78:81], v78, s[4:5] offset:32
	v_lshlrev_b32_e32 v82, 4, v139
	global_load_dwordx4 v[82:85], v82, s[4:5] offset:32
	v_and_b32_e32 v120, 3, v120
	v_lshlrev_b32_e32 v86, 4, v120
	global_load_dwordx4 v[86:89], v86, s[4:5] offset:32
	v_and_b32_e32 v121, 3, v121
	;; [unrolled: 3-line block ×3, first 2 shown]
	v_lshlrev_b32_e32 v94, 4, v124
	global_load_dwordx4 v[94:97], v94, s[4:5] offset:32
	ds_read2_b64 v[98:101], v160 offset0:114 offset1:177
	s_movk_i32 s0, 0x78
	s_movk_i32 s1, 0x2f8
	s_waitcnt vmcnt(9) lgkmcnt(0)
	v_mul_f64 v[102:103], v[98:99], v[60:61]
	v_fmac_f64_e32 v[102:103], v[20:21], v[58:59]
	v_mul_f64 v[20:21], v[20:21], v[60:61]
	v_fma_f64 v[98:99], v[98:99], v[58:59], -v[20:21]
	ds_read2_b64 v[58:61], v159 offset0:110 offset1:173
	s_waitcnt vmcnt(8)
	v_mul_f64 v[104:105], v[100:101], v[64:65]
	v_mul_f64 v[20:21], v[22:23], v[64:65]
	v_fmac_f64_e32 v[104:105], v[22:23], v[62:63]
	v_fma_f64 v[62:63], v[100:101], v[62:63], -v[20:21]
	ds_read2_b64 v[20:23], v158 offset0:116 offset1:179
	s_waitcnt vmcnt(7) lgkmcnt(1)
	v_mul_f64 v[64:65], v[58:59], v[68:69]
	v_fmac_f64_e32 v[64:65], v[16:17], v[66:67]
	v_mul_f64 v[16:17], v[16:17], v[68:69]
	v_fma_f64 v[66:67], v[58:59], v[66:67], -v[16:17]
	s_waitcnt vmcnt(6)
	v_mul_f64 v[58:59], v[60:61], v[72:73]
	v_fmac_f64_e32 v[58:59], v[18:19], v[70:71]
	v_mul_f64 v[16:17], v[18:19], v[72:73]
	s_waitcnt vmcnt(5) lgkmcnt(0)
	v_mul_f64 v[18:19], v[22:23], v[76:77]
	v_fmac_f64_e32 v[18:19], v[14:15], v[74:75]
	v_mul_f64 v[14:15], v[14:15], v[76:77]
	v_fma_f64 v[68:69], v[60:61], v[70:71], -v[16:17]
	v_fma_f64 v[70:71], v[22:23], v[74:75], -v[14:15]
	ds_read2_b64 v[14:17], v161 offset0:112 offset1:175
	s_waitcnt vmcnt(4)
	v_mul_f64 v[22:23], v[20:21], v[80:81]
	v_fmac_f64_e32 v[22:23], v[12:13], v[78:79]
	v_mul_f64 v[12:13], v[12:13], v[80:81]
	v_fma_f64 v[20:21], v[20:21], v[78:79], -v[12:13]
	s_waitcnt vmcnt(3) lgkmcnt(0)
	v_mul_f64 v[60:61], v[16:17], v[84:85]
	v_fmac_f64_e32 v[60:61], v[10:11], v[82:83]
	v_mul_f64 v[10:11], v[10:11], v[84:85]
	v_fma_f64 v[72:73], v[16:17], v[82:83], -v[10:11]
	ds_read2_b64 v[10:13], v57 offset0:108 offset1:171
	v_mul_f64 v[16:17], v[14:15], v[80:81]
	v_fmac_f64_e32 v[16:17], v[8:9], v[78:79]
	v_mul_f64 v[8:9], v[8:9], v[80:81]
	v_fma_f64 v[74:75], v[14:15], v[78:79], -v[8:9]
	s_waitcnt lgkmcnt(0)
	v_mul_f64 v[14:15], v[10:11], v[80:81]
	v_fmac_f64_e32 v[14:15], v[4:5], v[78:79]
	v_mul_f64 v[4:5], v[4:5], v[80:81]
	v_fma_f64 v[76:77], v[10:11], v[78:79], -v[4:5]
	ds_read2_b64 v[8:11], v162 offset0:106 offset1:169
	s_waitcnt vmcnt(2)
	v_mul_f64 v[4:5], v[12:13], v[88:89]
	v_fmac_f64_e32 v[4:5], v[6:7], v[86:87]
	v_mul_f64 v[6:7], v[6:7], v[88:89]
	v_fma_f64 v[78:79], v[12:13], v[86:87], -v[6:7]
	s_waitcnt vmcnt(1) lgkmcnt(0)
	v_mul_f64 v[6:7], v[8:9], v[92:93]
	v_fmac_f64_e32 v[6:7], v[0:1], v[90:91]
	v_mul_f64 v[0:1], v[0:1], v[92:93]
	v_fma_f64 v[80:81], v[8:9], v[90:91], -v[0:1]
	s_waitcnt vmcnt(0)
	v_mul_f64 v[0:1], v[10:11], v[96:97]
	v_fmac_f64_e32 v[0:1], v[2:3], v[94:95]
	v_mul_f64 v[2:3], v[2:3], v[96:97]
	v_fma_f64 v[82:83], v[10:11], v[94:95], -v[2:3]
	v_add_f64 v[2:3], v[48:49], -v[22:23]
	v_and_or_b32 v12, v44, s0, v135
	v_fma_f64 v[8:9], v[48:49], 2.0, -v[2:3]
	v_lshl_add_u32 v140, v12, 3, 0
	s_movk_i32 s0, 0xf8
	ds_read_b64 v[84:85], v53
	ds_read_b64 v[86:87], v56
	;; [unrolled: 1-line block ×12, first 2 shown]
	s_waitcnt lgkmcnt(0)
	; wave barrier
	s_waitcnt lgkmcnt(0)
	ds_write2_b64 v140, v[8:9], v[2:3] offset1:4
	v_and_or_b32 v12, v112, s0, v134
	v_add_f64 v[2:3], v[46:47], -v[18:19]
	v_fma_f64 v[8:9], v[46:47], 2.0, -v[2:3]
	v_lshl_add_u32 v112, v12, 3, 0
	s_movk_i32 s0, 0x1f8
	ds_write2_b64 v112, v[8:9], v[2:3] offset1:4
	v_and_or_b32 v12, v113, s0, v55
	v_add_f64 v[2:3], v[42:43], -v[102:103]
	v_fma_f64 v[8:9], v[42:43], 2.0, -v[2:3]
	v_lshl_add_u32 v113, v12, 3, 0
	ds_write2_b64 v113, v[8:9], v[2:3] offset1:4
	v_and_or_b32 v12, v114, s0, v125
	v_add_f64 v[2:3], v[40:41], -v[104:105]
	v_fma_f64 v[8:9], v[40:41], 2.0, -v[2:3]
	v_lshl_add_u32 v104, v12, 3, 0
	s_movk_i32 s0, 0x3f8
	ds_write2_b64 v104, v[8:9], v[2:3] offset1:4
	v_add_f64 v[2:3], v[38:39], -v[16:17]
	v_and_or_b32 v12, v115, s0, v135
	v_fma_f64 v[8:9], v[38:39], 2.0, -v[2:3]
	v_lshl_add_u32 v105, v12, 3, 0
	v_add_f64 v[14:15], v[28:29], -v[14:15]
	ds_write2_b64 v105, v[8:9], v[2:3] offset1:4
	v_add_f64 v[38:39], v[10:11], -v[20:21]
	v_add_f64 v[2:3], v[36:37], -v[60:61]
	v_fma_f64 v[20:21], v[28:29], 2.0, -v[14:15]
	v_and_or_b32 v28, v129, s1, v139
	v_fma_f64 v[8:9], v[36:37], 2.0, -v[2:3]
	v_lshl_add_u32 v114, v28, 3, 0
	ds_write2_b64 v114, v[8:9], v[2:3] offset1:4
	v_and_or_b32 v2, v131, s0, v130
	v_lshl_add_u32 v115, v2, 3, 0
	v_and_or_b32 v2, v132, s0, v133
	s_movk_i32 s0, 0x7f8
	v_lshl_add_u32 v125, v2, 3, 0
	v_and_or_b32 v2, v51, s0, v135
	s_movk_i32 s0, 0x4f8
	v_lshl_add_u32 v129, v2, 3, 0
	v_and_or_b32 v2, v54, s0, v120
	s_movk_i32 s0, 0x5f8
	v_lshl_add_u32 v120, v2, 3, 0
	v_and_or_b32 v2, v50, s0, v121
	v_fma_f64 v[102:103], v[10:11], 2.0, -v[38:39]
	v_add_f64 v[10:11], v[32:33], -v[64:65]
	v_add_f64 v[16:17], v[34:35], -v[58:59]
	;; [unrolled: 1-line block ×5, first 2 shown]
	v_lshl_add_u32 v121, v2, 3, 0
	v_and_or_b32 v2, v45, s0, v124
	v_add_f64 v[28:29], v[92:93], -v[70:71]
	v_fma_f64 v[12:13], v[32:33], 2.0, -v[10:11]
	v_fma_f64 v[18:19], v[34:35], 2.0, -v[16:17]
	;; [unrolled: 1-line block ×5, first 2 shown]
	v_lshl_add_u32 v45, v2, 3, 0
	v_fma_f64 v[30:31], v[92:93], 2.0, -v[28:29]
	ds_write2_b64 v115, v[12:13], v[10:11] offset1:4
	ds_write2_b64 v125, v[18:19], v[16:17] offset1:4
	;; [unrolled: 1-line block ×6, first 2 shown]
	s_waitcnt lgkmcnt(0)
	; wave barrier
	s_waitcnt lgkmcnt(0)
	ds_read_b64 v[54:55], v157
	ds_read2_b64 v[0:3], v160 offset0:177 offset1:240
	ds_read2_b64 v[24:27], v165 offset0:55 offset1:118
	;; [unrolled: 1-line block ×4, first 2 shown]
	ds_read_b64 v[50:51], v128
	ds_read_b64 v[48:49], v126
	;; [unrolled: 1-line block ×8, first 2 shown]
	ds_read_b64 v[58:59], v157 offset:11592
	ds_read2_b64 v[16:19], v159 offset0:173 offset1:236
	ds_read2_b64 v[8:11], v160 offset0:51 offset1:114
	;; [unrolled: 1-line block ×3, first 2 shown]
	s_waitcnt lgkmcnt(0)
	; wave barrier
	s_waitcnt lgkmcnt(0)
	ds_write2_b64 v140, v[102:103], v[38:39] offset1:4
	ds_write2_b64 v112, v[30:31], v[28:29] offset1:4
	v_add_f64 v[28:29], v[94:95], -v[98:99]
	v_fma_f64 v[30:31], v[94:95], 2.0, -v[28:29]
	ds_write2_b64 v113, v[30:31], v[28:29] offset1:4
	v_add_f64 v[28:29], v[96:97], -v[62:63]
	v_fma_f64 v[30:31], v[96:97], 2.0, -v[28:29]
	v_add_f64 v[32:33], v[100:101], -v[74:75]
	v_add_f64 v[36:37], v[106:107], -v[72:73]
	;; [unrolled: 1-line block ×8, first 2 shown]
	v_fma_f64 v[34:35], v[100:101], 2.0, -v[32:33]
	v_fma_f64 v[38:39], v[106:107], 2.0, -v[36:37]
	;; [unrolled: 1-line block ×8, first 2 shown]
	ds_write2_b64 v104, v[30:31], v[28:29] offset1:4
	ds_write2_b64 v105, v[34:35], v[32:33] offset1:4
	;; [unrolled: 1-line block ×9, first 2 shown]
	v_and_b32_e32 v45, 7, v156
	v_lshlrev_b32_e32 v28, 5, v45
	s_waitcnt lgkmcnt(0)
	; wave barrier
	s_waitcnt lgkmcnt(0)
	global_load_dwordx4 v[32:35], v28, s[4:5] offset:96
	s_nop 0
	global_load_dwordx4 v[28:31], v28, s[4:5] offset:112
	v_and_b32_e32 v62, 7, v155
	v_lshlrev_b32_e32 v63, 5, v62
	global_load_dwordx4 v[72:75], v63, s[4:5] offset:96
	global_load_dwordx4 v[36:39], v63, s[4:5] offset:112
	v_and_b32_e32 v63, 7, v153
	v_lshlrev_b32_e32 v64, 5, v63
	global_load_dwordx4 v[76:79], v64, s[4:5] offset:96
	v_and_b32_e32 v65, 7, v118
	v_lshlrev_b32_e32 v66, 5, v65
	global_load_dwordx4 v[82:85], v66, s[4:5] offset:96
	global_load_dwordx4 v[90:93], v64, s[4:5] offset:112
	;; [unrolled: 1-line block ×3, first 2 shown]
	v_and_b32_e32 v64, 7, v119
	v_lshlrev_b32_e32 v66, 5, v64
	global_load_dwordx4 v[100:103], v66, s[4:5] offset:96
	v_and_b32_e32 v129, 7, v116
	v_lshlrev_b32_e32 v67, 5, v129
	global_load_dwordx4 v[104:107], v67, s[4:5] offset:96
	global_load_dwordx4 v[108:111], v66, s[4:5] offset:112
	;; [unrolled: 1-line block ×3, first 2 shown]
	v_and_b32_e32 v124, 7, v152
	v_lshlrev_b32_e32 v66, 5, v124
	global_load_dwordx4 v[130:133], v66, s[4:5] offset:96
	global_load_dwordx4 v[140:143], v66, s[4:5] offset:112
	v_and_b32_e32 v139, 7, v117
	v_lshlrev_b32_e32 v66, 5, v139
	global_load_dwordx4 v[144:147], v66, s[4:5] offset:96
	global_load_dwordx4 v[166:169], v66, s[4:5] offset:112
	ds_read2_b64 v[86:89], v165 offset0:55 offset1:118
	ds_read2_b64 v[170:173], v159 offset0:47 offset1:110
	s_movk_i32 s0, 0xab
	s_mov_b32 s1, 0xaaab
	s_waitcnt vmcnt(15) lgkmcnt(1)
	v_mul_f64 v[66:67], v[86:87], v[34:35]
	s_waitcnt vmcnt(14) lgkmcnt(0)
	v_mul_f64 v[68:69], v[170:171], v[30:31]
	v_fmac_f64_e32 v[66:67], v[24:25], v[32:33]
	v_mul_f64 v[24:25], v[24:25], v[34:35]
	v_fmac_f64_e32 v[68:69], v[20:21], v[28:29]
	v_mul_f64 v[20:21], v[20:21], v[30:31]
	s_waitcnt vmcnt(13)
	v_mul_f64 v[30:31], v[88:89], v[74:75]
	v_fma_f64 v[70:71], v[86:87], v[32:33], -v[24:25]
	v_fma_f64 v[80:81], v[170:171], v[28:29], -v[20:21]
	v_fmac_f64_e32 v[30:31], v[26:27], v[72:73]
	v_mul_f64 v[20:21], v[26:27], v[74:75]
	ds_read2_b64 v[24:27], v165 offset0:181 offset1:244
	v_fma_f64 v[74:75], v[88:89], v[72:73], -v[20:21]
	s_waitcnt vmcnt(12)
	v_mul_f64 v[72:73], v[172:173], v[38:39]
	v_mul_f64 v[20:21], v[22:23], v[38:39]
	v_fmac_f64_e32 v[72:73], v[22:23], v[36:37]
	v_fma_f64 v[86:87], v[172:173], v[36:37], -v[20:21]
	ds_read2_b64 v[20:23], v159 offset0:173 offset1:236
	s_waitcnt vmcnt(11) lgkmcnt(1)
	v_mul_f64 v[34:35], v[24:25], v[78:79]
	v_fmac_f64_e32 v[34:35], v[12:13], v[76:77]
	v_mul_f64 v[12:13], v[12:13], v[78:79]
	v_fma_f64 v[78:79], v[24:25], v[76:77], -v[12:13]
	s_waitcnt vmcnt(10)
	v_mul_f64 v[12:13], v[14:15], v[84:85]
	v_mul_f64 v[32:33], v[26:27], v[84:85]
	v_fma_f64 v[38:39], v[26:27], v[82:83], -v[12:13]
	s_waitcnt vmcnt(9) lgkmcnt(0)
	v_mul_f64 v[88:89], v[20:21], v[92:93]
	v_mul_f64 v[12:13], v[16:17], v[92:93]
	v_fmac_f64_e32 v[32:33], v[14:15], v[82:83]
	v_fmac_f64_e32 v[88:89], v[16:17], v[90:91]
	v_fma_f64 v[98:99], v[20:21], v[90:91], -v[12:13]
	ds_read2_b64 v[12:15], v160 offset0:51 offset1:114
	s_waitcnt vmcnt(8)
	v_mul_f64 v[82:83], v[22:23], v[96:97]
	v_mul_f64 v[16:17], v[18:19], v[96:97]
	v_fmac_f64_e32 v[82:83], v[18:19], v[94:95]
	v_fma_f64 v[94:95], v[22:23], v[94:95], -v[16:17]
	ds_read2_b64 v[16:19], v162 offset0:43 offset1:106
	s_waitcnt vmcnt(7) lgkmcnt(1)
	v_mul_f64 v[76:77], v[12:13], v[102:103]
	v_fmac_f64_e32 v[76:77], v[8:9], v[100:101]
	v_mul_f64 v[8:9], v[8:9], v[102:103]
	v_fma_f64 v[90:91], v[12:13], v[100:101], -v[8:9]
	s_waitcnt vmcnt(5) lgkmcnt(0)
	v_mul_f64 v[96:97], v[16:17], v[110:111]
	v_mul_f64 v[8:9], v[10:11], v[106:107]
	v_fmac_f64_e32 v[96:97], v[4:5], v[108:109]
	v_mul_f64 v[4:5], v[4:5], v[110:111]
	v_fma_f64 v[84:85], v[14:15], v[104:105], -v[8:9]
	v_fma_f64 v[102:103], v[16:17], v[108:109], -v[4:5]
	s_waitcnt vmcnt(4)
	v_mul_f64 v[92:93], v[18:19], v[114:115]
	ds_read_b64 v[8:9], v123
	v_mul_f64 v[4:5], v[6:7], v[114:115]
	v_fmac_f64_e32 v[92:93], v[6:7], v[112:113]
	v_fma_f64 v[100:101], v[18:19], v[112:113], -v[4:5]
	ds_read2_b64 v[4:7], v160 offset0:177 offset1:240
	ds_read_b64 v[28:29], v122
	v_mul_f64 v[36:37], v[14:15], v[106:107]
	s_waitcnt vmcnt(3)
	v_mul_f64 v[12:13], v[60:61], v[132:133]
	v_fmac_f64_e32 v[36:37], v[10:11], v[104:105]
	s_waitcnt lgkmcnt(2)
	v_mul_f64 v[10:11], v[8:9], v[132:133]
	v_fma_f64 v[8:9], v[8:9], v[130:131], -v[12:13]
	s_waitcnt vmcnt(2) lgkmcnt(1)
	v_mul_f64 v[12:13], v[6:7], v[142:143]
	v_fmac_f64_e32 v[12:13], v[2:3], v[140:141]
	v_mul_f64 v[2:3], v[2:3], v[142:143]
	v_fma_f64 v[2:3], v[6:7], v[140:141], -v[2:3]
	ds_read_b64 v[6:7], v157 offset:11592
	s_waitcnt vmcnt(1)
	v_mul_f64 v[104:105], v[4:5], v[146:147]
	v_fmac_f64_e32 v[10:11], v[60:61], v[130:131]
	v_fmac_f64_e32 v[104:105], v[0:1], v[144:145]
	v_mul_f64 v[0:1], v[0:1], v[146:147]
	v_fma_f64 v[108:109], v[4:5], v[144:145], -v[0:1]
	s_waitcnt vmcnt(0)
	v_mul_f64 v[0:1], v[58:59], v[168:169]
	v_add_f64 v[4:5], v[10:11], v[12:13]
	s_waitcnt lgkmcnt(0)
	v_fma_f64 v[120:121], v[6:7], v[166:167], -v[0:1]
	v_add_f64 v[0:1], v[54:55], v[10:11]
	v_fmac_f64_e32 v[54:55], -0.5, v[4:5]
	v_lshrrev_b32_e32 v4, 3, v152
	v_mul_u32_u24_e32 v4, 24, v4
	v_or_b32_e32 v4, v4, v124
	v_lshl_add_u32 v144, v4, 3, 0
	v_add_f64 v[4:5], v[8:9], -v[2:3]
	v_mul_f64 v[114:115], v[6:7], v[168:169]
	v_add_f64 v[0:1], v[0:1], v[12:13]
	v_fma_f64 v[6:7], s[2:3], v[4:5], v[54:55]
	v_fmac_f64_e32 v[54:55], s[6:7], v[4:5]
	v_add_f64 v[4:5], v[66:67], v[68:69]
	ds_read_b64 v[106:107], v151
	ds_read_b64 v[110:111], v150
	;; [unrolled: 1-line block ×7, first 2 shown]
	s_waitcnt lgkmcnt(0)
	; wave barrier
	s_waitcnt lgkmcnt(0)
	ds_write2_b64 v144, v[0:1], v[6:7] offset1:8
	v_add_f64 v[0:1], v[56:57], v[66:67]
	v_fmac_f64_e32 v[56:57], -0.5, v[4:5]
	v_lshrrev_b32_e32 v4, 3, v156
	v_mul_lo_u32 v4, v4, 24
	v_or_b32_e32 v4, v4, v45
	v_lshl_add_u32 v45, v4, 3, 0
	v_add_f64 v[4:5], v[70:71], -v[80:81]
	v_add_f64 v[0:1], v[0:1], v[68:69]
	v_fma_f64 v[6:7], s[2:3], v[4:5], v[56:57]
	v_fmac_f64_e32 v[56:57], s[6:7], v[4:5]
	v_add_f64 v[4:5], v[30:31], v[72:73]
	ds_write_b64 v144, v[54:55] offset:128
	ds_write2_b64 v45, v[0:1], v[6:7] offset1:8
	v_add_f64 v[0:1], v[52:53], v[30:31]
	v_fmac_f64_e32 v[52:53], -0.5, v[4:5]
	v_lshrrev_b32_e32 v4, 3, v155
	v_mul_lo_u32 v4, v4, 24
	v_or_b32_e32 v4, v4, v62
	v_lshl_add_u32 v145, v4, 3, 0
	v_add_f64 v[4:5], v[74:75], -v[86:87]
	v_add_f64 v[0:1], v[0:1], v[72:73]
	v_fma_f64 v[6:7], s[2:3], v[4:5], v[52:53]
	v_fmac_f64_e32 v[52:53], s[6:7], v[4:5]
	v_add_f64 v[4:5], v[34:35], v[88:89]
	ds_write_b64 v45, v[56:57] offset:128
	ds_write2_b64 v145, v[0:1], v[6:7] offset1:8
	v_add_f64 v[0:1], v[50:51], v[34:35]
	v_fmac_f64_e32 v[50:51], -0.5, v[4:5]
	v_lshrrev_b32_e32 v4, 3, v153
	v_mul_lo_u32 v4, v4, 24
	v_or_b32_e32 v4, v4, v63
	v_lshl_add_u32 v146, v4, 3, 0
	v_add_f64 v[4:5], v[78:79], -v[98:99]
	v_add_f64 v[0:1], v[0:1], v[88:89]
	v_fma_f64 v[6:7], s[2:3], v[4:5], v[50:51]
	ds_write_b64 v145, v[52:53] offset:128
	ds_write2_b64 v146, v[0:1], v[6:7] offset1:8
	v_add_f64 v[0:1], v[112:113], v[8:9]
	v_add_f64 v[140:141], v[0:1], v[2:3]
	;; [unrolled: 1-line block ×4, first 2 shown]
	v_fmac_f64_e32 v[112:113], -0.5, v[0:1]
	v_add_f64 v[0:1], v[48:49], v[32:33]
	v_fmac_f64_e32 v[48:49], -0.5, v[2:3]
	v_add_f64 v[2:3], v[38:39], -v[94:95]
	v_fmac_f64_e32 v[50:51], s[6:7], v[4:5]
	v_fma_f64 v[4:5], s[2:3], v[2:3], v[48:49]
	v_fmac_f64_e32 v[48:49], s[6:7], v[2:3]
	v_lshrrev_b32_e32 v2, 3, v118
	v_mul_lo_u32 v2, v2, 24
	v_or_b32_e32 v2, v2, v65
	v_add_f64 v[0:1], v[0:1], v[82:83]
	v_lshl_add_u32 v147, v2, 3, 0
	v_add_f64 v[2:3], v[76:77], v[96:97]
	ds_write_b64 v146, v[50:51] offset:128
	ds_write2_b64 v147, v[0:1], v[4:5] offset1:8
	v_add_f64 v[0:1], v[46:47], v[76:77]
	v_fmac_f64_e32 v[46:47], -0.5, v[2:3]
	v_add_f64 v[2:3], v[90:91], -v[102:103]
	v_add_f64 v[6:7], v[36:37], v[92:93]
	v_fma_f64 v[4:5], s[2:3], v[2:3], v[46:47]
	v_fmac_f64_e32 v[46:47], s[6:7], v[2:3]
	v_add_f64 v[2:3], v[42:43], v[36:37]
	v_fmac_f64_e32 v[42:43], -0.5, v[6:7]
	v_lshrrev_b32_e32 v6, 3, v119
	v_mul_lo_u32 v6, v6, 24
	v_or_b32_e32 v6, v6, v64
	v_fmac_f64_e32 v[114:115], v[58:59], v[166:167]
	v_add_f64 v[0:1], v[0:1], v[96:97]
	v_lshl_add_u32 v148, v6, 3, 0
	ds_write_b64 v147, v[48:49] offset:128
	ds_write2_b64 v148, v[0:1], v[4:5] offset1:8
	v_add_f64 v[0:1], v[84:85], -v[100:101]
	v_add_f64 v[6:7], v[104:105], v[114:115]
	v_fma_f64 v[4:5], s[2:3], v[0:1], v[42:43]
	v_fmac_f64_e32 v[42:43], s[6:7], v[0:1]
	v_add_f64 v[0:1], v[40:41], v[104:105]
	v_fmac_f64_e32 v[40:41], -0.5, v[6:7]
	v_add_f64 v[6:7], v[108:109], -v[120:121]
	v_fma_f64 v[8:9], s[2:3], v[6:7], v[40:41]
	v_fmac_f64_e32 v[40:41], s[6:7], v[6:7]
	v_lshrrev_b32_e32 v6, 3, v116
	v_mul_lo_u32 v6, v6, 24
	v_or_b32_e32 v6, v6, v129
	v_add_f64 v[2:3], v[2:3], v[92:93]
	v_lshl_add_u32 v129, v6, 3, 0
	ds_write_b64 v148, v[46:47] offset:128
	ds_write2_b64 v129, v[2:3], v[4:5] offset1:8
	ds_write_b64 v129, v[42:43] offset:128
	v_lshrrev_b32_e32 v2, 3, v117
	v_mul_lo_u32 v2, v2, 24
	v_or_b32_e32 v2, v2, v139
	v_add_f64 v[142:143], v[10:11], -v[12:13]
	v_add_f64 v[0:1], v[0:1], v[114:115]
	v_lshl_add_u32 v139, v2, 3, 0
	ds_write2_b64 v139, v[0:1], v[8:9] offset1:8
	ds_write_b64 v139, v[40:41] offset:128
	v_fma_f64 v[40:41], s[6:7], v[142:143], v[112:113]
	v_add_f64 v[42:43], v[70:71], v[80:81]
	s_waitcnt lgkmcnt(0)
	; wave barrier
	s_waitcnt lgkmcnt(0)
	ds_read_b64 v[58:59], v157
	ds_read_b64 v[54:55], v128
	;; [unrolled: 1-line block ×9, first 2 shown]
	ds_read_b64 v[62:63], v157 offset:11592
	ds_read2_b64 v[0:3], v160 offset0:177 offset1:240
	ds_read2_b64 v[24:27], v165 offset0:55 offset1:118
	ds_read2_b64 v[20:23], v159 offset0:47 offset1:110
	ds_read2_b64 v[16:19], v165 offset0:181 offset1:244
	ds_read2_b64 v[12:15], v159 offset0:173 offset1:236
	ds_read2_b64 v[8:11], v160 offset0:51 offset1:114
	ds_read2_b64 v[4:7], v162 offset0:43 offset1:106
	s_waitcnt lgkmcnt(0)
	; wave barrier
	s_waitcnt lgkmcnt(0)
	ds_write2_b64 v144, v[140:141], v[40:41] offset1:8
	v_add_f64 v[40:41], v[110:111], v[70:71]
	v_fmac_f64_e32 v[110:111], -0.5, v[42:43]
	v_add_f64 v[42:43], v[66:67], -v[68:69]
	v_add_f64 v[68:69], v[74:75], v[86:87]
	v_fma_f64 v[66:67], s[6:7], v[42:43], v[110:111]
	v_fmac_f64_e32 v[110:111], s[2:3], v[42:43]
	v_add_f64 v[42:43], v[106:107], v[74:75]
	v_fmac_f64_e32 v[106:107], -0.5, v[68:69]
	v_add_f64 v[30:31], v[30:31], -v[72:73]
	v_add_f64 v[70:71], v[78:79], v[98:99]
	v_fma_f64 v[68:69], s[6:7], v[30:31], v[106:107]
	v_fmac_f64_e32 v[106:107], s[2:3], v[30:31]
	v_add_f64 v[30:31], v[124:125], v[78:79]
	v_fmac_f64_e32 v[124:125], -0.5, v[70:71]
	v_add_f64 v[34:35], v[34:35], -v[88:89]
	v_fma_f64 v[70:71], s[6:7], v[34:35], v[124:125]
	v_fmac_f64_e32 v[124:125], s[2:3], v[34:35]
	v_add_f64 v[34:35], v[130:131], v[38:39]
	v_add_f64 v[38:39], v[38:39], v[94:95]
	v_fmac_f64_e32 v[130:131], -0.5, v[38:39]
	v_add_f64 v[32:33], v[32:33], -v[82:83]
	v_add_f64 v[72:73], v[90:91], v[102:103]
	v_fma_f64 v[38:39], s[6:7], v[32:33], v[130:131]
	v_fmac_f64_e32 v[130:131], s[2:3], v[32:33]
	v_add_f64 v[32:33], v[132:133], v[90:91]
	v_fmac_f64_e32 v[132:133], -0.5, v[72:73]
	v_add_f64 v[72:73], v[76:77], -v[96:97]
	v_add_f64 v[76:77], v[84:85], v[100:101]
	v_fma_f64 v[74:75], s[6:7], v[72:73], v[132:133]
	v_fmac_f64_e32 v[132:133], s[2:3], v[72:73]
	;; [unrolled: 6-line block ×3, first 2 shown]
	v_add_f64 v[36:37], v[28:29], v[108:109]
	v_fmac_f64_e32 v[28:29], -0.5, v[78:79]
	v_add_f64 v[78:79], v[104:105], -v[114:115]
	v_fmac_f64_e32 v[112:113], s[2:3], v[142:143]
	v_add_f64 v[40:41], v[40:41], v[80:81]
	v_fma_f64 v[80:81], s[6:7], v[78:79], v[28:29]
	v_fmac_f64_e32 v[28:29], s[2:3], v[78:79]
	ds_write_b64 v144, v[112:113] offset:128
	v_add_f64 v[42:43], v[42:43], v[86:87]
	v_add_f64 v[30:31], v[30:31], v[98:99]
	;; [unrolled: 1-line block ×6, first 2 shown]
	ds_write2_b64 v45, v[40:41], v[66:67] offset1:8
	ds_write_b64 v45, v[110:111] offset:128
	ds_write2_b64 v145, v[42:43], v[68:69] offset1:8
	ds_write_b64 v145, v[106:107] offset:128
	;; [unrolled: 2-line block ×7, first 2 shown]
	v_mul_lo_u16_sdwa v28, v156, s0 dst_sel:DWORD dst_unused:UNUSED_PAD src0_sel:BYTE_0 src1_sel:DWORD
	v_lshrrev_b16_e32 v45, 12, v28
	v_mul_lo_u16_e32 v28, 24, v45
	v_sub_u16_e32 v109, v156, v28
	v_mul_lo_u16_sdwa v28, v155, s0 dst_sel:DWORD dst_unused:UNUSED_PAD src0_sel:BYTE_0 src1_sel:DWORD
	v_lshrrev_b16_e32 v111, 12, v28
	v_mov_b32_e32 v108, 5
	v_mul_lo_u16_e32 v28, 24, v111
	v_lshlrev_b32_sdwa v66, v108, v109 dst_sel:DWORD dst_unused:UNUSED_PAD src0_sel:DWORD src1_sel:BYTE_0
	v_sub_u16_e32 v112, v155, v28
	s_waitcnt lgkmcnt(0)
	; wave barrier
	s_waitcnt lgkmcnt(0)
	global_load_dwordx4 v[32:35], v66, s[4:5] offset:352
	v_lshlrev_b32_sdwa v67, v108, v112 dst_sel:DWORD dst_unused:UNUSED_PAD src0_sel:DWORD src1_sel:BYTE_0
	global_load_dwordx4 v[40:43], v67, s[4:5] offset:352
	global_load_dwordx4 v[36:39], v66, s[4:5] offset:368
	;; [unrolled: 1-line block ×3, first 2 shown]
	v_mul_lo_u16_sdwa v66, v153, s0 dst_sel:DWORD dst_unused:UNUSED_PAD src0_sel:BYTE_0 src1_sel:DWORD
	v_lshrrev_b16_e32 v113, 12, v66
	v_mul_lo_u16_e32 v66, 24, v113
	v_sub_u16_e32 v114, v153, v66
	v_lshlrev_b32_sdwa v66, v108, v114 dst_sel:DWORD dst_unused:UNUSED_PAD src0_sel:DWORD src1_sel:BYTE_0
	global_load_dwordx4 v[72:75], v66, s[4:5] offset:352
	global_load_dwordx4 v[80:83], v66, s[4:5] offset:368
	v_mul_u32_u24_sdwa v66, v118, s1 dst_sel:DWORD dst_unused:UNUSED_PAD src0_sel:WORD_0 src1_sel:DWORD
	v_lshrrev_b32_e32 v115, 20, v66
	v_mul_lo_u16_e32 v66, 24, v115
	v_sub_u16_e32 v129, v118, v66
	v_lshlrev_b32_e32 v66, 5, v129
	global_load_dwordx4 v[96:99], v66, s[4:5] offset:352
	global_load_dwordx4 v[100:103], v66, s[4:5] offset:368
	v_mul_u32_u24_sdwa v66, v119, s1 dst_sel:DWORD dst_unused:UNUSED_PAD src0_sel:WORD_0 src1_sel:DWORD
	v_lshrrev_b32_e32 v139, 20, v66
	v_mul_lo_u16_e32 v66, 24, v139
	v_sub_u16_e32 v148, v119, v66
	v_mul_u32_u24_sdwa v67, v116, s1 dst_sel:DWORD dst_unused:UNUSED_PAD src0_sel:WORD_0 src1_sel:DWORD
	v_lshlrev_b32_e32 v66, 5, v148
	v_lshrrev_b32_e32 v149, 20, v67
	global_load_dwordx4 v[104:107], v66, s[4:5] offset:352
	v_mul_lo_u16_e32 v67, 24, v149
	v_sub_u16_e32 v182, v116, v67
	v_lshlrev_b32_e32 v67, 5, v182
	global_load_dwordx4 v[130:133], v67, s[4:5] offset:352
	global_load_dwordx4 v[140:143], v66, s[4:5] offset:368
	;; [unrolled: 1-line block ×3, first 2 shown]
	v_mul_lo_u16_sdwa v66, v152, s0 dst_sel:DWORD dst_unused:UNUSED_PAD src0_sel:BYTE_0 src1_sel:DWORD
	v_lshrrev_b16_e32 v110, 12, v66
	v_mul_lo_u16_e32 v66, 24, v110
	v_sub_u16_e32 v134, v152, v66
	v_lshlrev_b32_sdwa v66, v108, v134 dst_sel:DWORD dst_unused:UNUSED_PAD src0_sel:DWORD src1_sel:BYTE_0
	v_mul_u32_u24_sdwa v67, v117, s1 dst_sel:DWORD dst_unused:UNUSED_PAD src0_sel:WORD_0 src1_sel:DWORD
	global_load_dwordx4 v[166:169], v66, s[4:5] offset:368
	v_lshrrev_b32_e32 v183, 20, v67
	v_mul_lo_u16_e32 v67, 24, v183
	v_sub_u16_e32 v184, v117, v67
	v_lshlrev_b32_e32 v67, 5, v184
	global_load_dwordx4 v[170:173], v67, s[4:5] offset:352
	global_load_dwordx4 v[174:177], v66, s[4:5] offset:352
	global_load_dwordx4 v[178:181], v67, s[4:5] offset:368
	ds_read2_b64 v[68:71], v165 offset0:55 offset1:118
	ds_read2_b64 v[84:87], v159 offset0:47 offset1:110
	s_mov_b32 s0, 0x5040100
	s_movk_i32 s1, 0x240
	s_waitcnt vmcnt(15) lgkmcnt(1)
	v_mul_f64 v[66:67], v[68:69], v[34:35]
	v_fmac_f64_e32 v[66:67], v[24:25], v[32:33]
	v_mul_f64 v[24:25], v[24:25], v[34:35]
	v_fma_f64 v[68:69], v[68:69], v[32:33], -v[24:25]
	s_waitcnt vmcnt(14)
	v_mul_f64 v[32:33], v[70:71], v[42:43]
	v_mul_f64 v[24:25], v[26:27], v[42:43]
	s_waitcnt vmcnt(13) lgkmcnt(0)
	v_mul_f64 v[78:79], v[84:85], v[38:39]
	v_fmac_f64_e32 v[32:33], v[26:27], v[40:41]
	v_fma_f64 v[34:35], v[70:71], v[40:41], -v[24:25]
	ds_read2_b64 v[24:27], v165 offset0:181 offset1:244
	v_fmac_f64_e32 v[78:79], v[20:21], v[36:37]
	v_mul_f64 v[20:21], v[20:21], v[38:39]
	s_waitcnt vmcnt(12)
	v_mul_f64 v[70:71], v[86:87], v[30:31]
	v_fma_f64 v[94:95], v[84:85], v[36:37], -v[20:21]
	v_fmac_f64_e32 v[70:71], v[22:23], v[28:29]
	v_mul_f64 v[30:31], v[22:23], v[30:31]
	ds_read2_b64 v[20:23], v159 offset0:173 offset1:236
	s_waitcnt vmcnt(11) lgkmcnt(1)
	v_mul_f64 v[36:37], v[24:25], v[74:75]
	v_fmac_f64_e32 v[36:37], v[16:17], v[72:73]
	v_mul_f64 v[16:17], v[16:17], v[74:75]
	s_waitcnt vmcnt(9)
	v_mul_f64 v[38:39], v[26:27], v[98:99]
	s_waitcnt lgkmcnt(0)
	v_mul_f64 v[74:75], v[20:21], v[82:83]
	v_fmac_f64_e32 v[74:75], v[12:13], v[80:81]
	v_mul_f64 v[12:13], v[12:13], v[82:83]
	v_fma_f64 v[76:77], v[24:25], v[72:73], -v[16:17]
	v_fma_f64 v[90:91], v[20:21], v[80:81], -v[12:13]
	v_fmac_f64_e32 v[38:39], v[18:19], v[96:97]
	v_mul_f64 v[12:13], v[18:19], v[98:99]
	ds_read2_b64 v[16:19], v160 offset0:51 offset1:114
	v_fma_f64 v[80:81], v[26:27], v[96:97], -v[12:13]
	s_waitcnt vmcnt(8)
	v_mul_f64 v[82:83], v[22:23], v[102:103]
	v_mul_f64 v[12:13], v[14:15], v[102:103]
	v_fmac_f64_e32 v[82:83], v[14:15], v[100:101]
	v_fma_f64 v[96:97], v[22:23], v[100:101], -v[12:13]
	s_waitcnt vmcnt(7) lgkmcnt(0)
	v_mul_f64 v[72:73], v[16:17], v[106:107]
	ds_read2_b64 v[12:15], v162 offset0:43 offset1:106
	v_fmac_f64_e32 v[72:73], v[8:9], v[104:105]
	v_mul_f64 v[8:9], v[8:9], v[106:107]
	v_fma_f64 v[88:89], v[16:17], v[104:105], -v[8:9]
	s_waitcnt vmcnt(6)
	v_mul_f64 v[40:41], v[18:19], v[132:133]
	v_mul_f64 v[8:9], v[10:11], v[132:133]
	v_fmac_f64_e32 v[40:41], v[10:11], v[130:131]
	v_fma_f64 v[84:85], v[18:19], v[130:131], -v[8:9]
	ds_read2_b64 v[8:11], v160 offset0:177 offset1:240
	s_waitcnt vmcnt(5) lgkmcnt(1)
	v_mul_f64 v[100:101], v[12:13], v[142:143]
	v_fmac_f64_e32 v[100:101], v[4:5], v[140:141]
	v_mul_f64 v[4:5], v[4:5], v[142:143]
	v_fma_f64 v[104:105], v[12:13], v[140:141], -v[4:5]
	s_waitcnt vmcnt(4)
	v_mul_f64 v[92:93], v[14:15], v[146:147]
	v_mul_f64 v[4:5], v[6:7], v[146:147]
	v_fmac_f64_e32 v[92:93], v[6:7], v[144:145]
	v_fma_f64 v[102:103], v[14:15], v[144:145], -v[4:5]
	s_waitcnt vmcnt(3) lgkmcnt(0)
	v_mul_f64 v[4:5], v[10:11], v[168:169]
	ds_read_b64 v[6:7], v123
	v_fmac_f64_e32 v[4:5], v[2:3], v[166:167]
	v_mul_f64 v[2:3], v[2:3], v[168:169]
	v_fma_f64 v[2:3], v[10:11], v[166:167], -v[2:3]
	ds_read_b64 v[10:11], v157 offset:11592
	s_waitcnt vmcnt(2)
	v_mul_f64 v[98:99], v[8:9], v[172:173]
	v_fmac_f64_e32 v[98:99], v[0:1], v[170:171]
	v_mul_f64 v[0:1], v[0:1], v[172:173]
	v_fma_f64 v[106:107], v[8:9], v[170:171], -v[0:1]
	ds_read_b64 v[42:43], v122
	s_waitcnt vmcnt(1) lgkmcnt(2)
	v_mul_f64 v[0:1], v[6:7], v[176:177]
	v_mul_f64 v[8:9], v[64:65], v[176:177]
	v_fmac_f64_e32 v[0:1], v[64:65], v[174:175]
	v_fma_f64 v[6:7], v[6:7], v[174:175], -v[8:9]
	s_waitcnt vmcnt(0)
	v_mul_f64 v[8:9], v[62:63], v[180:181]
	s_waitcnt lgkmcnt(1)
	v_mul_f64 v[130:131], v[10:11], v[180:181]
	v_fma_f64 v[132:133], v[10:11], v[178:179], -v[8:9]
	v_add_f64 v[10:11], v[0:1], v[4:5]
	v_add_f64 v[8:9], v[58:59], v[0:1]
	v_fmac_f64_e32 v[58:59], -0.5, v[10:11]
	v_mul_u32_u24_e32 v10, 0x240, v110
	v_mov_b32_e32 v110, 3
	v_lshlrev_b32_sdwa v11, v110, v134 dst_sel:DWORD dst_unused:UNUSED_PAD src0_sel:DWORD src1_sel:BYTE_0
	v_add3_u32 v146, 0, v10, v11
	v_add_f64 v[10:11], v[6:7], -v[2:3]
	v_add_f64 v[8:9], v[8:9], v[4:5]
	v_fma_f64 v[12:13], s[2:3], v[10:11], v[58:59]
	v_fmac_f64_e32 v[58:59], s[6:7], v[10:11]
	v_add_f64 v[10:11], v[66:67], v[78:79]
	ds_read_b64 v[64:65], v151
	ds_read_b64 v[120:121], v150
	;; [unrolled: 1-line block ×7, first 2 shown]
	s_waitcnt lgkmcnt(0)
	; wave barrier
	s_waitcnt lgkmcnt(0)
	ds_write2_b64 v146, v[8:9], v[12:13] offset1:24
	v_add_f64 v[8:9], v[60:61], v[66:67]
	v_fmac_f64_e32 v[60:61], -0.5, v[10:11]
	v_mul_u32_u24_e32 v10, 0x240, v45
	v_lshlrev_b32_sdwa v11, v110, v109 dst_sel:DWORD dst_unused:UNUSED_PAD src0_sel:DWORD src1_sel:BYTE_0
	v_add3_u32 v45, 0, v10, v11
	v_add_f64 v[10:11], v[68:69], -v[94:95]
	v_add_f64 v[8:9], v[8:9], v[78:79]
	v_fma_f64 v[12:13], s[2:3], v[10:11], v[60:61]
	v_fmac_f64_e32 v[60:61], s[6:7], v[10:11]
	v_add_f64 v[10:11], v[32:33], v[70:71]
	v_fma_f64 v[86:87], v[86:87], v[28:29], -v[30:31]
	ds_write_b64 v146, v[58:59] offset:384
	ds_write2_b64 v45, v[8:9], v[12:13] offset1:24
	v_add_f64 v[8:9], v[56:57], v[32:33]
	v_fmac_f64_e32 v[56:57], -0.5, v[10:11]
	v_mul_u32_u24_e32 v10, 0x240, v111
	v_lshlrev_b32_sdwa v11, v110, v112 dst_sel:DWORD dst_unused:UNUSED_PAD src0_sel:DWORD src1_sel:BYTE_0
	v_add3_u32 v109, 0, v10, v11
	v_add_f64 v[10:11], v[34:35], -v[86:87]
	v_add_f64 v[8:9], v[8:9], v[70:71]
	v_fma_f64 v[12:13], s[2:3], v[10:11], v[56:57]
	v_fmac_f64_e32 v[56:57], s[6:7], v[10:11]
	v_add_f64 v[10:11], v[36:37], v[74:75]
	ds_write_b64 v45, v[60:61] offset:384
	ds_write2_b64 v109, v[8:9], v[12:13] offset1:24
	v_add_f64 v[8:9], v[54:55], v[36:37]
	v_fmac_f64_e32 v[54:55], -0.5, v[10:11]
	v_mul_u32_u24_e32 v10, 0x240, v113
	v_lshlrev_b32_sdwa v11, v110, v114 dst_sel:DWORD dst_unused:UNUSED_PAD src0_sel:DWORD src1_sel:BYTE_0
	v_add3_u32 v111, 0, v10, v11
	v_add_f64 v[10:11], v[76:77], -v[90:91]
	v_add_f64 v[8:9], v[8:9], v[74:75]
	v_fma_f64 v[12:13], s[2:3], v[10:11], v[54:55]
	v_fmac_f64_e32 v[54:55], s[6:7], v[10:11]
	v_add_f64 v[10:11], v[38:39], v[82:83]
	ds_write_b64 v109, v[56:57] offset:384
	ds_write2_b64 v111, v[8:9], v[12:13] offset1:24
	v_add_f64 v[8:9], v[52:53], v[38:39]
	v_fmac_f64_e32 v[52:53], -0.5, v[10:11]
	v_perm_b32 v10, v139, v115, s0
	v_pk_mul_lo_u16 v14, v10, s1 op_sel_hi:[1,0]
	v_lshlrev_b32_e32 v10, 3, v129
	v_and_b32_e32 v11, 0xffc0, v14
	v_add3_u32 v129, 0, v11, v10
	v_add_f64 v[10:11], v[80:81], -v[96:97]
	v_add_f64 v[8:9], v[8:9], v[82:83]
	v_fma_f64 v[12:13], s[2:3], v[10:11], v[52:53]
	v_fmac_f64_e32 v[52:53], s[6:7], v[10:11]
	v_add_f64 v[10:11], v[72:73], v[100:101]
	ds_write_b64 v111, v[54:55] offset:384
	ds_write2_b64 v129, v[8:9], v[12:13] offset1:24
	v_add_f64 v[8:9], v[50:51], v[72:73]
	v_fmac_f64_e32 v[50:51], -0.5, v[10:11]
	v_lshrrev_b32_e32 v10, 16, v14
	v_lshlrev_b32_e32 v11, 3, v148
	v_add3_u32 v139, 0, v10, v11
	v_add_f64 v[10:11], v[88:89], -v[104:105]
	v_add_f64 v[8:9], v[8:9], v[100:101]
	v_fma_f64 v[12:13], s[2:3], v[10:11], v[50:51]
	ds_write_b64 v129, v[52:53] offset:384
	ds_write2_b64 v139, v[8:9], v[12:13] offset1:24
	v_add_f64 v[8:9], v[124:125], v[6:7]
	v_add_f64 v[112:113], v[8:9], v[2:3]
	;; [unrolled: 1-line block ×3, first 2 shown]
	v_fmac_f64_e32 v[130:131], v[62:63], v[178:179]
	v_fmac_f64_e32 v[124:125], -0.5, v[2:3]
	v_add_f64 v[2:3], v[40:41], v[92:93]
	v_add_f64 v[114:115], v[0:1], -v[4:5]
	v_add_f64 v[0:1], v[48:49], v[40:41]
	v_fmac_f64_e32 v[48:49], -0.5, v[2:3]
	v_add_f64 v[2:3], v[84:85], -v[102:103]
	v_add_f64 v[6:7], v[98:99], v[130:131]
	v_fma_f64 v[4:5], s[2:3], v[2:3], v[48:49]
	v_fmac_f64_e32 v[48:49], s[6:7], v[2:3]
	v_add_f64 v[2:3], v[46:47], v[98:99]
	v_fmac_f64_e32 v[46:47], -0.5, v[6:7]
	v_perm_b32 v6, v183, v149, s0
	v_pk_mul_lo_u16 v6, v6, s1 op_sel_hi:[1,0]
	v_lshlrev_b32_e32 v7, 3, v182
	v_and_b32_e32 v8, 0xffc0, v6
	v_fmac_f64_e32 v[50:51], s[6:7], v[10:11]
	v_add3_u32 v147, 0, v8, v7
	v_add_f64 v[0:1], v[0:1], v[92:93]
	ds_write_b64 v139, v[50:51] offset:384
	ds_write2_b64 v147, v[0:1], v[4:5] offset1:24
	v_add_f64 v[0:1], v[106:107], -v[132:133]
	v_fma_f64 v[4:5], s[2:3], v[0:1], v[46:47]
	v_fmac_f64_e32 v[46:47], s[6:7], v[0:1]
	v_lshrrev_b32_e32 v0, 16, v6
	v_lshlrev_b32_e32 v1, 3, v184
	v_add_f64 v[2:3], v[2:3], v[130:131]
	v_add3_u32 v148, 0, v0, v1
	ds_write_b64 v147, v[48:49] offset:384
	ds_write2_b64 v148, v[2:3], v[4:5] offset1:24
	ds_write_b64 v148, v[46:47] offset:384
	v_fma_f64 v[46:47], s[6:7], v[114:115], v[124:125]
	s_waitcnt lgkmcnt(0)
	; wave barrier
	s_waitcnt lgkmcnt(0)
	ds_read_b64 v[56:57], v157
	ds_read_b64 v[0:1], v128
	;; [unrolled: 1-line block ×7, first 2 shown]
	ds_read_b64 v[60:61], v157 offset:11592
	ds_read2_b64 v[4:7], v160 offset0:177 offset1:240
	ds_read2_b64 v[28:31], v165 offset0:55 offset1:118
	;; [unrolled: 1-line block ×7, first 2 shown]
	ds_read_b64 v[62:63], v123
	ds_read_b64 v[2:3], v122
	s_waitcnt lgkmcnt(0)
	; wave barrier
	s_waitcnt lgkmcnt(0)
	ds_write2_b64 v146, v[112:113], v[46:47] offset1:24
	v_add_f64 v[46:47], v[120:121], v[68:69]
	v_add_f64 v[68:69], v[68:69], v[94:95]
	v_fmac_f64_e32 v[120:121], -0.5, v[68:69]
	v_add_f64 v[66:67], v[66:67], -v[78:79]
	v_fmac_f64_e32 v[124:125], s[2:3], v[114:115]
	v_add_f64 v[46:47], v[46:47], v[94:95]
	v_fma_f64 v[68:69], s[6:7], v[66:67], v[120:121]
	ds_write_b64 v146, v[124:125] offset:384
	ds_write2_b64 v45, v[46:47], v[68:69] offset1:24
	v_add_f64 v[46:47], v[64:65], v[34:35]
	v_add_f64 v[34:35], v[34:35], v[86:87]
	v_fmac_f64_e32 v[120:121], s[2:3], v[66:67]
	v_fmac_f64_e32 v[64:65], -0.5, v[34:35]
	v_add_f64 v[32:33], v[32:33], -v[70:71]
	v_add_f64 v[66:67], v[76:77], v[90:91]
	v_fma_f64 v[34:35], s[6:7], v[32:33], v[64:65]
	v_fmac_f64_e32 v[64:65], s[2:3], v[32:33]
	v_add_f64 v[32:33], v[134:135], v[76:77]
	v_fmac_f64_e32 v[134:135], -0.5, v[66:67]
	v_add_f64 v[36:37], v[36:37], -v[74:75]
	v_add_f64 v[68:69], v[80:81], v[96:97]
	v_fma_f64 v[66:67], s[6:7], v[36:37], v[134:135]
	v_fmac_f64_e32 v[134:135], s[2:3], v[36:37]
	v_add_f64 v[36:37], v[140:141], v[80:81]
	v_fmac_f64_e32 v[140:141], -0.5, v[68:69]
	v_add_f64 v[38:39], v[38:39], -v[82:83]
	v_add_f64 v[70:71], v[88:89], v[104:105]
	v_fma_f64 v[68:69], s[6:7], v[38:39], v[140:141]
	v_fmac_f64_e32 v[140:141], s[2:3], v[38:39]
	v_add_f64 v[38:39], v[142:143], v[88:89]
	v_fmac_f64_e32 v[142:143], -0.5, v[70:71]
	v_add_f64 v[70:71], v[72:73], -v[100:101]
	v_add_f64 v[74:75], v[84:85], v[102:103]
	v_fma_f64 v[72:73], s[6:7], v[70:71], v[142:143]
	v_fmac_f64_e32 v[142:143], s[2:3], v[70:71]
	v_add_f64 v[70:71], v[144:145], v[84:85]
	v_fmac_f64_e32 v[144:145], -0.5, v[74:75]
	v_add_f64 v[40:41], v[40:41], -v[92:93]
	v_add_f64 v[76:77], v[106:107], v[132:133]
	v_add_f64 v[32:33], v[32:33], v[90:91]
	v_fma_f64 v[74:75], s[6:7], v[40:41], v[144:145]
	v_fmac_f64_e32 v[144:145], s[2:3], v[40:41]
	v_add_f64 v[40:41], v[42:43], v[106:107]
	v_fmac_f64_e32 v[42:43], -0.5, v[76:77]
	v_add_f64 v[76:77], v[98:99], -v[130:131]
	v_add_f64 v[46:47], v[46:47], v[86:87]
	v_add_f64 v[36:37], v[36:37], v[96:97]
	;; [unrolled: 1-line block ×5, first 2 shown]
	v_fma_f64 v[78:79], s[6:7], v[76:77], v[42:43]
	v_fmac_f64_e32 v[42:43], s[2:3], v[76:77]
	ds_write_b64 v45, v[120:121] offset:384
	ds_write2_b64 v109, v[46:47], v[34:35] offset1:24
	ds_write_b64 v109, v[64:65] offset:384
	ds_write2_b64 v111, v[32:33], v[66:67] offset1:24
	;; [unrolled: 2-line block ×6, first 2 shown]
	ds_write_b64 v148, v[42:43] offset:384
	v_add_u32_e32 v32, -9, v152
	v_cmp_gt_u32_e64 s[0:1], 9, v152
	v_mov_b32_e32 v45, 0
	v_lshl_add_u64 v[64:65], v[44:45], 4, s[4:5]
	v_cndmask_b32_e64 v111, v32, v156, s[0:1]
	v_lshlrev_b32_e32 v44, 1, v111
	v_lshl_add_u64 v[66:67], v[44:45], 4, s[4:5]
	s_waitcnt lgkmcnt(0)
	; wave barrier
	s_waitcnt lgkmcnt(0)
	global_load_dwordx4 v[36:39], v[66:67], off offset:1120
	v_mov_b32_e32 v68, 57
	v_mul_lo_u16_sdwa v32, v155, v68 dst_sel:DWORD dst_unused:UNUSED_PAD src0_sel:BYTE_0 src1_sel:DWORD
	v_lshrrev_b16_e32 v139, 12, v32
	v_mul_lo_u16_e32 v32, 0x48, v139
	v_sub_u16_e32 v186, v155, v32
	v_lshlrev_b32_sdwa v69, v108, v186 dst_sel:DWORD dst_unused:UNUSED_PAD src0_sel:DWORD src1_sel:BYTE_0
	global_load_dwordx4 v[44:47], v69, s[4:5] offset:1120
	global_load_dwordx4 v[40:43], v[66:67], off offset:1136
	global_load_dwordx4 v[32:35], v69, s[4:5] offset:1136
	v_mul_lo_u16_sdwa v66, v153, v68 dst_sel:DWORD dst_unused:UNUSED_PAD src0_sel:BYTE_0 src1_sel:DWORD
	v_lshrrev_b16_e32 v187, 12, v66
	v_mul_lo_u16_e32 v66, 0x48, v187
	v_sub_u16_e32 v188, v153, v66
	v_lshlrev_b32_sdwa v66, v108, v188 dst_sel:DWORD dst_unused:UNUSED_PAD src0_sel:DWORD src1_sel:BYTE_0
	s_mov_b32 s0, 0xe38f
	global_load_dwordx4 v[72:75], v66, s[4:5] offset:1120
	global_load_dwordx4 v[82:85], v66, s[4:5] offset:1136
	v_mul_u32_u24_sdwa v66, v118, s0 dst_sel:DWORD dst_unused:UNUSED_PAD src0_sel:WORD_0 src1_sel:DWORD
	v_lshrrev_b32_e32 v189, 22, v66
	v_mul_lo_u16_e32 v66, 0x48, v189
	v_sub_u16_e32 v190, v118, v66
	v_lshlrev_b32_e32 v66, 5, v190
	global_load_dwordx4 v[90:93], v66, s[4:5] offset:1120
	global_load_dwordx4 v[94:97], v66, s[4:5] offset:1136
	v_mul_u32_u24_sdwa v66, v119, s0 dst_sel:DWORD dst_unused:UNUSED_PAD src0_sel:WORD_0 src1_sel:DWORD
	v_lshrrev_b32_e32 v191, 22, v66
	v_mul_lo_u16_e32 v66, 0x48, v191
	v_sub_u16_e32 v192, v119, v66
	v_lshlrev_b32_e32 v66, 5, v192
	v_mul_u32_u24_sdwa v67, v116, s0 dst_sel:DWORD dst_unused:UNUSED_PAD src0_sel:WORD_0 src1_sel:DWORD
	global_load_dwordx4 v[130:133], v66, s[4:5] offset:1120
	v_lshrrev_b32_e32 v193, 22, v67
	v_mul_lo_u16_e32 v67, 0x48, v193
	v_sub_u16_e32 v194, v116, v67
	v_lshlrev_b32_e32 v67, 5, v194
	global_load_dwordx4 v[140:143], v67, s[4:5] offset:1120
	global_load_dwordx4 v[144:147], v66, s[4:5] offset:1136
	;; [unrolled: 1-line block ×3, first 2 shown]
	v_mul_u32_u24_sdwa v66, v117, s0 dst_sel:DWORD dst_unused:UNUSED_PAD src0_sel:WORD_0 src1_sel:DWORD
	v_lshrrev_b32_e32 v66, 22, v66
	v_mul_lo_u16_e32 v66, 0x48, v66
	v_sub_u16_e32 v195, v117, v66
	v_lshlrev_b32_e32 v66, 5, v195
	global_load_dwordx4 v[170:173], v[64:65], off offset:1136
	global_load_dwordx4 v[174:177], v66, s[4:5] offset:1120
	global_load_dwordx4 v[178:181], v[64:65], off offset:1120
	global_load_dwordx4 v[182:185], v66, s[4:5] offset:1136
	ds_read2_b64 v[68:71], v165 offset0:55 offset1:118
	v_cmp_lt_u32_e64 s[0:1], 8, v152
	s_waitcnt vmcnt(15) lgkmcnt(0)
	v_mul_f64 v[66:67], v[68:69], v[38:39]
	v_fmac_f64_e32 v[66:67], v[28:29], v[36:37]
	v_mul_f64 v[28:29], v[28:29], v[38:39]
	v_fma_f64 v[88:89], v[68:69], v[36:37], -v[28:29]
	ds_read2_b64 v[36:39], v159 offset0:47 offset1:110
	s_waitcnt vmcnt(14)
	v_mul_f64 v[64:65], v[70:71], v[46:47]
	v_mul_f64 v[28:29], v[30:31], v[46:47]
	v_fmac_f64_e32 v[64:65], v[30:31], v[44:45]
	v_fma_f64 v[70:71], v[70:71], v[44:45], -v[28:29]
	s_waitcnt vmcnt(13) lgkmcnt(0)
	v_mul_f64 v[104:105], v[36:37], v[42:43]
	v_fmac_f64_e32 v[104:105], v[24:25], v[40:41]
	v_mul_f64 v[24:25], v[24:25], v[42:43]
	v_fma_f64 v[118:119], v[36:37], v[40:41], -v[24:25]
	ds_read2_b64 v[28:31], v165 offset0:181 offset1:244
	s_waitcnt vmcnt(12)
	v_mul_f64 v[78:79], v[38:39], v[34:35]
	v_mul_f64 v[24:25], v[26:27], v[34:35]
	v_fmac_f64_e32 v[78:79], v[26:27], v[32:33]
	v_fma_f64 v[108:109], v[38:39], v[32:33], -v[24:25]
	ds_read2_b64 v[24:27], v159 offset0:173 offset1:236
	s_waitcnt vmcnt(11) lgkmcnt(1)
	v_mul_f64 v[68:69], v[28:29], v[74:75]
	v_fmac_f64_e32 v[68:69], v[20:21], v[72:73]
	v_mul_f64 v[20:21], v[20:21], v[74:75]
	v_fma_f64 v[102:103], v[28:29], v[72:73], -v[20:21]
	s_waitcnt vmcnt(10) lgkmcnt(0)
	v_mul_f64 v[80:81], v[24:25], v[84:85]
	v_fmac_f64_e32 v[80:81], v[16:17], v[82:83]
	v_mul_f64 v[16:17], v[16:17], v[84:85]
	s_waitcnt vmcnt(9)
	v_mul_f64 v[20:21], v[30:31], v[92:93]
	v_fma_f64 v[112:113], v[24:25], v[82:83], -v[16:17]
	v_fmac_f64_e32 v[20:21], v[22:23], v[90:91]
	v_mul_f64 v[16:17], v[22:23], v[92:93]
	ds_read2_b64 v[22:25], v160 offset0:51 offset1:114
	v_fma_f64 v[98:99], v[30:31], v[90:91], -v[16:17]
	s_waitcnt vmcnt(8)
	v_mul_f64 v[16:17], v[18:19], v[96:97]
	v_mul_f64 v[82:83], v[26:27], v[96:97]
	v_fma_f64 v[114:115], v[26:27], v[94:95], -v[16:17]
	ds_read2_b64 v[26:29], v162 offset0:43 offset1:106
	v_fmac_f64_e32 v[82:83], v[18:19], v[94:95]
	s_waitcnt vmcnt(7) lgkmcnt(1)
	v_mul_f64 v[18:19], v[22:23], v[132:133]
	v_fmac_f64_e32 v[18:19], v[12:13], v[130:131]
	v_mul_f64 v[12:13], v[12:13], v[132:133]
	v_fma_f64 v[100:101], v[22:23], v[130:131], -v[12:13]
	s_waitcnt vmcnt(6)
	v_mul_f64 v[16:17], v[24:25], v[142:143]
	v_mul_f64 v[12:13], v[14:15], v[142:143]
	v_fmac_f64_e32 v[16:17], v[14:15], v[140:141]
	v_fma_f64 v[22:23], v[24:25], v[140:141], -v[12:13]
	ds_read2_b64 v[12:15], v160 offset0:177 offset1:240
	s_waitcnt vmcnt(5) lgkmcnt(1)
	v_mul_f64 v[106:107], v[26:27], v[146:147]
	v_fmac_f64_e32 v[106:107], v[8:9], v[144:145]
	v_mul_f64 v[8:9], v[8:9], v[146:147]
	v_fma_f64 v[120:121], v[26:27], v[144:145], -v[8:9]
	s_waitcnt vmcnt(4)
	v_mul_f64 v[8:9], v[10:11], v[168:169]
	v_fma_f64 v[116:117], v[28:29], v[166:167], -v[8:9]
	ds_read_b64 v[8:9], v123
	s_waitcnt vmcnt(2) lgkmcnt(1)
	v_mul_f64 v[76:77], v[12:13], v[176:177]
	v_fmac_f64_e32 v[76:77], v[4:5], v[174:175]
	v_mul_f64 v[4:5], v[4:5], v[176:177]
	v_mul_f64 v[140:141], v[14:15], v[172:173]
	v_fma_f64 v[4:5], v[12:13], v[174:175], -v[4:5]
	ds_read_b64 v[12:13], v157 offset:11592
	v_fmac_f64_e32 v[140:141], v[6:7], v[170:171]
	v_mul_f64 v[6:7], v[6:7], v[172:173]
	v_mul_f64 v[86:87], v[28:29], v[168:169]
	v_fma_f64 v[142:143], v[14:15], v[170:171], -v[6:7]
	ds_read_b64 v[6:7], v122
	s_waitcnt vmcnt(1) lgkmcnt(2)
	v_mul_f64 v[146:147], v[8:9], v[180:181]
	v_fmac_f64_e32 v[86:87], v[10:11], v[166:167]
	v_fmac_f64_e32 v[146:147], v[62:63], v[178:179]
	v_mul_f64 v[10:11], v[62:63], v[180:181]
	v_fma_f64 v[148:149], v[8:9], v[178:179], -v[10:11]
	s_waitcnt vmcnt(0)
	v_mul_f64 v[8:9], v[60:61], v[184:185]
	v_add_f64 v[10:11], v[146:147], v[140:141]
	s_waitcnt lgkmcnt(1)
	v_fma_f64 v[134:135], v[12:13], v[182:183], -v[8:9]
	v_add_f64 v[8:9], v[56:57], v[146:147]
	v_fmac_f64_e32 v[56:57], -0.5, v[10:11]
	v_add_f64 v[10:11], v[148:149], -v[142:143]
	v_mul_f64 v[132:133], v[12:13], v[184:185]
	v_add_f64 v[8:9], v[8:9], v[140:141]
	v_fma_f64 v[12:13], s[2:3], v[10:11], v[56:57]
	v_fmac_f64_e32 v[56:57], s[6:7], v[10:11]
	v_add_f64 v[10:11], v[66:67], v[104:105]
	ds_read_b64 v[62:63], v151
	ds_read_b64 v[122:123], v150
	;; [unrolled: 1-line block ×3, first 2 shown]
	v_fmac_f64_e32 v[132:133], v[60:61], v[182:183]
	ds_read_b64 v[130:131], v128
	ds_read_b64 v[128:129], v126
	;; [unrolled: 1-line block ×4, first 2 shown]
	s_waitcnt lgkmcnt(0)
	; wave barrier
	s_waitcnt lgkmcnt(0)
	ds_write2_b64 v157, v[8:9], v[12:13] offset1:72
	v_add_f64 v[8:9], v[58:59], v[66:67]
	v_fmac_f64_e32 v[58:59], -0.5, v[10:11]
	v_mov_b32_e32 v10, 0x6c0
	v_cndmask_b32_e64 v10, 0, v10, s[0:1]
	v_lshlrev_b32_e32 v11, 3, v111
	ds_write_b64 v157, v[56:57] offset:1152
	v_add3_u32 v56, 0, v10, v11
	v_add_f64 v[10:11], v[88:89], -v[118:119]
	v_add_f64 v[8:9], v[8:9], v[104:105]
	v_fma_f64 v[12:13], s[2:3], v[10:11], v[58:59]
	v_fmac_f64_e32 v[58:59], s[6:7], v[10:11]
	v_add_f64 v[10:11], v[64:65], v[78:79]
	ds_write2_b64 v56, v[8:9], v[12:13] offset1:72
	v_add_f64 v[8:9], v[54:55], v[64:65]
	v_fmac_f64_e32 v[54:55], -0.5, v[10:11]
	v_mul_u32_u24_e32 v10, 0x6c0, v139
	v_lshlrev_b32_sdwa v11, v110, v186 dst_sel:DWORD dst_unused:UNUSED_PAD src0_sel:DWORD src1_sel:BYTE_0
	v_add3_u32 v57, 0, v10, v11
	v_add_f64 v[10:11], v[70:71], -v[108:109]
	v_add_f64 v[8:9], v[8:9], v[78:79]
	v_fma_f64 v[12:13], s[2:3], v[10:11], v[54:55]
	v_fmac_f64_e32 v[54:55], s[6:7], v[10:11]
	v_add_f64 v[10:11], v[68:69], v[80:81]
	ds_write_b64 v56, v[58:59] offset:1152
	ds_write2_b64 v57, v[8:9], v[12:13] offset1:72
	v_add_f64 v[8:9], v[0:1], v[68:69]
	v_fmac_f64_e32 v[0:1], -0.5, v[10:11]
	v_add_f64 v[10:11], v[102:103], -v[112:113]
	v_fma_f64 v[12:13], s[2:3], v[10:11], v[0:1]
	v_fmac_f64_e32 v[0:1], s[6:7], v[10:11]
	v_lshlrev_b32_sdwa v10, v110, v188 dst_sel:DWORD dst_unused:UNUSED_PAD src0_sel:DWORD src1_sel:BYTE_0
	v_mul_u32_u24_e32 v11, 0x6c0, v187
	ds_write_b64 v57, v[54:55] offset:1152
	v_add_f64 v[8:9], v[8:9], v[80:81]
	v_add3_u32 v54, 0, v11, v10
	v_add_f64 v[10:11], v[20:21], v[82:83]
	ds_write2_b64 v54, v[8:9], v[12:13] offset1:72
	v_add_f64 v[8:9], v[52:53], v[20:21]
	v_fmac_f64_e32 v[52:53], -0.5, v[10:11]
	v_add_f64 v[10:11], v[98:99], -v[114:115]
	v_add_f64 v[14:15], v[18:19], v[106:107]
	v_fma_f64 v[12:13], s[2:3], v[10:11], v[52:53]
	v_fmac_f64_e32 v[52:53], s[6:7], v[10:11]
	v_add_f64 v[10:11], v[50:51], v[18:19]
	v_fmac_f64_e32 v[50:51], -0.5, v[14:15]
	v_add_f64 v[14:15], v[100:101], -v[120:121]
	v_fma_f64 v[24:25], s[2:3], v[14:15], v[50:51]
	v_fmac_f64_e32 v[50:51], s[6:7], v[14:15]
	ds_write_b64 v54, v[0:1] offset:1152
	v_mul_u32_u24_e32 v0, 0x6c0, v189
	v_lshlrev_b32_e32 v1, 3, v190
	v_add_f64 v[14:15], v[2:3], v[76:77]
	v_add3_u32 v55, 0, v0, v1
	v_add_f64 v[0:1], v[8:9], v[82:83]
	v_add_f64 v[138:139], v[14:15], v[132:133]
	v_mul_u32_u24_e32 v14, 0x6c0, v191
	v_lshlrev_b32_e32 v15, 3, v192
	ds_write2_b64 v55, v[0:1], v[12:13] offset1:72
	v_add_f64 v[0:1], v[16:17], v[86:87]
	ds_write_b64 v55, v[52:53] offset:1152
	v_add_f64 v[10:11], v[10:11], v[106:107]
	v_add3_u32 v52, 0, v14, v15
	v_add_f64 v[8:9], v[48:49], v[16:17]
	v_fmac_f64_e32 v[48:49], -0.5, v[0:1]
	v_add_f64 v[0:1], v[22:23], -v[116:117]
	ds_write2_b64 v52, v[10:11], v[24:25] offset1:72
	ds_write_b64 v52, v[50:51] offset:1152
	v_mul_u32_u24_e32 v10, 0x6c0, v193
	v_lshlrev_b32_e32 v11, 3, v194
	v_fma_f64 v[12:13], s[2:3], v[0:1], v[48:49]
	v_fmac_f64_e32 v[48:49], s[6:7], v[0:1]
	v_add_f64 v[0:1], v[76:77], v[132:133]
	v_add_f64 v[8:9], v[8:9], v[86:87]
	v_add3_u32 v50, 0, v10, v11
	v_fmac_f64_e32 v[2:3], -0.5, v[0:1]
	v_add_f64 v[26:27], v[4:5], -v[134:135]
	ds_write2_b64 v50, v[8:9], v[12:13] offset1:72
	ds_write_b64 v50, v[48:49] offset:1152
	v_lshl_add_u32 v48, v195, 3, 0
	v_fma_f64 v[0:1], s[2:3], v[26:27], v[2:3]
	v_add_u32_e32 v49, 0x2800, v48
	v_add_u32_e32 v166, 0x800, v157
	v_fmac_f64_e32 v[2:3], s[6:7], v[26:27]
	ds_write2_b64 v49, v[138:139], v[0:1] offset0:16 offset1:88
	ds_write_b64 v48, v[2:3] offset:11520
	s_waitcnt lgkmcnt(0)
	; wave barrier
	s_waitcnt lgkmcnt(0)
	ds_read2_b64 v[24:27], v157 offset1:216
	ds_read2_b64 v[28:31], v166 offset0:176 offset1:239
	ds_read_b64 v[84:85], v151
	ds_read_b64 v[144:145], v150
	ds_read_b64 v[110:111], v157 offset:11376
	ds_read2_b64 v[36:39], v165 offset0:46 offset1:136
	ds_read2_b64 v[32:35], v160 offset0:96 offset1:159
	;; [unrolled: 1-line block ×7, first 2 shown]
	v_sub_u32_e32 v8, 0, v164
	v_cmp_gt_u32_e64 s[0:1], 27, v152
	v_add_u32_e32 v163, v163, v8
                                        ; implicit-def: $vgpr10_vgpr11
                                        ; implicit-def: $vgpr14_vgpr15
	s_and_saveexec_b64 s[10:11], s[0:1]
	s_cbranch_execz .LBB0_15
; %bb.14:
	v_add_u32_e32 v8, 0x1a00, v157
	v_add_u32_e32 v0, 0xc00, v157
	ds_read2_b64 v[12:15], v8 offset0:5 offset1:221
	v_add_u32_e32 v8, 0x2700, v157
	ds_read_b64 v[138:139], v163
	ds_read2_b64 v[0:3], v0 offset0:21 offset1:237
	ds_read2_b64 v[8:11], v8 offset0:21 offset1:237
.LBB0_15:
	s_or_b64 exec, exec, s[10:11]
	v_add_f64 v[58:59], v[124:125], v[148:149]
	v_add_f64 v[58:59], v[58:59], v[142:143]
	;; [unrolled: 1-line block ×3, first 2 shown]
	v_fmac_f64_e32 v[124:125], -0.5, v[142:143]
	v_add_f64 v[140:141], v[146:147], -v[140:141]
	v_fma_f64 v[142:143], s[6:7], v[140:141], v[124:125]
	v_fmac_f64_e32 v[124:125], s[2:3], v[140:141]
	v_add_f64 v[140:141], v[122:123], v[88:89]
	v_add_f64 v[88:89], v[88:89], v[118:119]
	v_fmac_f64_e32 v[122:123], -0.5, v[88:89]
	v_add_f64 v[66:67], v[66:67], -v[104:105]
	v_fma_f64 v[88:89], s[6:7], v[66:67], v[122:123]
	v_fmac_f64_e32 v[122:123], s[2:3], v[66:67]
	v_add_f64 v[66:67], v[62:63], v[70:71]
	v_add_f64 v[70:71], v[70:71], v[108:109]
	v_fmac_f64_e32 v[62:63], -0.5, v[70:71]
	v_add_f64 v[64:65], v[64:65], -v[78:79]
	v_add_f64 v[78:79], v[102:103], v[112:113]
	v_fma_f64 v[70:71], s[6:7], v[64:65], v[62:63]
	v_fmac_f64_e32 v[62:63], s[2:3], v[64:65]
	v_add_f64 v[64:65], v[130:131], v[102:103]
	v_fmac_f64_e32 v[130:131], -0.5, v[78:79]
	v_add_f64 v[68:69], v[68:69], -v[80:81]
	v_add_f64 v[80:81], v[98:99], v[114:115]
	v_fma_f64 v[78:79], s[6:7], v[68:69], v[130:131]
	v_fmac_f64_e32 v[130:131], s[2:3], v[68:69]
	;; [unrolled: 6-line block ×3, first 2 shown]
	v_add_f64 v[20:21], v[126:127], v[100:101]
	v_fmac_f64_e32 v[126:127], -0.5, v[82:83]
	v_add_f64 v[18:19], v[18:19], -v[106:107]
	v_fma_f64 v[82:83], s[6:7], v[18:19], v[126:127]
	v_fmac_f64_e32 v[126:127], s[2:3], v[18:19]
	v_add_f64 v[18:19], v[60:61], v[22:23]
	v_add_f64 v[22:23], v[22:23], v[116:117]
	v_fmac_f64_e32 v[60:61], -0.5, v[22:23]
	v_add_f64 v[16:17], v[16:17], -v[86:87]
	v_fma_f64 v[22:23], s[6:7], v[16:17], v[60:61]
	v_fmac_f64_e32 v[60:61], s[2:3], v[16:17]
	v_add_f64 v[16:17], v[6:7], v[4:5]
	v_add_f64 v[4:5], v[4:5], v[134:135]
	;; [unrolled: 1-line block ×7, first 2 shown]
	v_fmac_f64_e32 v[6:7], -0.5, v[4:5]
	v_add_f64 v[16:17], v[76:77], -v[132:133]
	v_add_f64 v[20:21], v[20:21], v[120:121]
	v_add_f64 v[18:19], v[18:19], v[116:117]
	v_fma_f64 v[4:5], s[6:7], v[16:17], v[6:7]
	v_fmac_f64_e32 v[6:7], s[2:3], v[16:17]
	s_waitcnt lgkmcnt(0)
	; wave barrier
	s_waitcnt lgkmcnt(0)
	ds_write2_b64 v157, v[58:59], v[142:143] offset1:72
	ds_write_b64 v157, v[124:125] offset:1152
	ds_write2_b64 v56, v[146:147], v[88:89] offset1:72
	ds_write_b64 v56, v[122:123] offset:1152
	;; [unrolled: 2-line block ×7, first 2 shown]
	ds_write2_b64 v49, v[140:141], v[4:5] offset0:16 offset1:88
	ds_write_b64 v48, v[6:7] offset:11520
	s_waitcnt lgkmcnt(0)
	; wave barrier
	s_waitcnt lgkmcnt(0)
	ds_read2_b64 v[48:51], v157 offset1:216
	ds_read2_b64 v[60:63], v166 offset0:176 offset1:239
	ds_read2_b64 v[56:59], v165 offset0:46 offset1:136
	;; [unrolled: 1-line block ×8, first 2 shown]
	ds_read_b64 v[148:149], v151
	ds_read_b64 v[146:147], v150
	ds_read_b64 v[150:151], v157 offset:11376
                                        ; implicit-def: $vgpr18_vgpr19
                                        ; implicit-def: $vgpr22_vgpr23
	s_and_saveexec_b64 s[2:3], s[0:1]
	s_cbranch_execz .LBB0_17
; %bb.16:
	v_add_u32_e32 v16, 0x1a00, v157
	v_add_u32_e32 v4, 0xc00, v157
	ds_read2_b64 v[20:23], v16 offset0:5 offset1:221
	v_add_u32_e32 v16, 0x2700, v157
	ds_read_b64 v[140:141], v163
	ds_read2_b64 v[4:7], v4 offset0:21 offset1:237
	ds_read2_b64 v[16:19], v16 offset0:21 offset1:237
.LBB0_17:
	s_or_b64 exec, exec, s[2:3]
	s_and_saveexec_b64 s[2:3], vcc
	s_cbranch_execz .LBB0_20
; %bb.18:
	v_mul_i32_i24_e32 v142, 6, v155
	v_mov_b32_e32 v143, 0
	v_lshl_add_u64 v[120:121], v[142:143], 4, s[4:5]
	global_load_dwordx4 v[76:79], v[120:121], off offset:3424
	global_load_dwordx4 v[106:109], v[120:121], off offset:3504
	global_load_dwordx4 v[80:83], v[120:121], off offset:3472
	global_load_dwordx4 v[98:101], v[120:121], off offset:3456
	global_load_dwordx4 v[102:105], v[120:121], off offset:3440
	global_load_dwordx4 v[128:131], v[120:121], off offset:3488
	v_mul_i32_i24_e32 v142, 6, v156
	v_lshl_add_u64 v[164:165], v[142:143], 4, s[4:5]
	global_load_dwordx4 v[120:123], v[164:165], off offset:3472
	global_load_dwordx4 v[124:127], v[164:165], off offset:3456
	;; [unrolled: 1-line block ×5, first 2 shown]
	s_nop 0
	global_load_dwordx4 v[164:167], v[164:165], off offset:3488
	s_mov_b32 s14, 0x36b3c0b5
	s_mov_b32 s16, 0x37e14327
	;; [unrolled: 1-line block ×20, first 2 shown]
	s_movk_i32 s28, 0x510
	s_waitcnt vmcnt(11) lgkmcnt(5)
	v_mul_f64 v[168:169], v[118:119], v[78:79]
	s_waitcnt vmcnt(10) lgkmcnt(0)
	v_mul_f64 v[170:171], v[150:151], v[108:109]
	s_waitcnt vmcnt(9)
	v_mul_f64 v[172:173], v[64:65], v[82:83]
	s_waitcnt vmcnt(8)
	;; [unrolled: 2-line block ×4, first 2 shown]
	v_mul_f64 v[178:179], v[114:115], v[130:131]
	v_mul_f64 v[108:109], v[110:111], v[108:109]
	v_mul_f64 v[78:79], v[96:97], v[78:79]
	v_mul_f64 v[130:131], v[92:93], v[130:131]
	v_mul_f64 v[104:105], v[36:37], v[104:105]
	v_mul_f64 v[100:101], v[74:75], v[100:101]
	v_mul_f64 v[82:83], v[40:41], v[82:83]
	v_fmac_f64_e32 v[170:171], v[110:111], v[106:107]
	v_fma_f64 v[106:107], v[150:151], v[106:107], -v[108:109]
	v_fmac_f64_e32 v[168:169], v[96:97], v[76:77]
	v_fmac_f64_e32 v[172:173], v[40:41], v[80:81]
	;; [unrolled: 1-line block ×5, first 2 shown]
	v_fma_f64 v[36:37], v[118:119], v[76:77], -v[78:79]
	v_fma_f64 v[40:41], v[114:115], v[128:129], -v[130:131]
	;; [unrolled: 1-line block ×5, first 2 shown]
	v_add_f64 v[82:83], v[168:169], -v[170:171]
	v_add_f64 v[76:77], v[172:173], -v[174:175]
	;; [unrolled: 1-line block ×3, first 2 shown]
	v_add_f64 v[92:93], v[36:37], v[106:107]
	v_add_f64 v[96:97], v[56:57], v[40:41]
	;; [unrolled: 1-line block ×6, first 2 shown]
	v_add_f64 v[36:37], v[36:37], -v[106:107]
	v_add_f64 v[102:103], v[82:83], -v[76:77]
	;; [unrolled: 1-line block ×3, first 2 shown]
	v_add_f64 v[76:77], v[76:77], v[88:89]
	v_add_f64 v[106:107], v[92:93], v[96:97]
	v_add_f64 v[110:111], v[78:79], -v[96:97]
	v_add_f64 v[114:115], v[98:99], v[100:101]
	v_add_f64 v[128:129], v[80:81], -v[100:101]
	v_add_f64 v[130:131], v[82:83], v[76:77]
	v_add_f64 v[76:77], v[78:79], v[106:107]
	v_add_f64 v[108:109], v[92:93], -v[78:79]
	v_add_f64 v[118:119], v[98:99], -v[80:81]
	v_mul_f64 v[110:111], v[110:111], s[14:15]
	v_add_f64 v[114:115], v[80:81], v[114:115]
	v_mul_f64 v[128:129], v[128:129], s[14:15]
	v_add_f64 v[80:81], v[148:149], v[76:77]
	v_add_f64 v[40:41], v[56:57], -v[40:41]
	v_add_f64 v[56:57], v[88:89], -v[82:83]
	v_mul_f64 v[106:107], v[108:109], s[16:17]
	v_mul_f64 v[150:151], v[118:119], s[16:17]
	v_add_f64 v[78:79], v[84:85], v[114:115]
	v_fma_f64 v[84:85], s[16:17], v[108:109], v[110:111]
	v_fma_f64 v[108:109], s[16:17], v[118:119], v[128:129]
	v_mov_b64_e32 v[118:119], v[80:81]
	v_add_f64 v[64:65], v[64:65], -v[74:75]
	v_mul_f64 v[74:75], v[56:57], s[20:21]
	v_mov_b64_e32 v[168:169], v[78:79]
	v_fmac_f64_e32 v[118:119], s[12:13], v[76:77]
	v_fma_f64 v[88:89], v[102:103], s[18:19], -v[74:75]
	v_add_f64 v[82:83], v[36:37], -v[64:65]
	v_add_f64 v[74:75], v[64:65], -v[40:41]
	v_add_f64 v[64:65], v[64:65], v[40:41]
	v_fmac_f64_e32 v[168:169], s[12:13], v[114:115]
	v_add_f64 v[114:115], v[84:85], v[118:119]
	v_add_f64 v[84:85], v[96:97], -v[92:93]
	v_add_f64 v[64:65], v[36:37], v[64:65]
	v_add_f64 v[36:37], v[40:41], -v[36:37]
	v_mul_f64 v[104:105], v[104:105], s[10:11]
	v_mul_f64 v[92:93], v[74:75], s[10:11]
	v_add_f64 v[96:97], v[100:101], -v[98:99]
	v_fma_f64 v[98:99], v[84:85], s[22:23], -v[106:107]
	v_mul_f64 v[40:41], v[36:37], s[20:21]
	v_fma_f64 v[148:149], s[6:7], v[102:103], v[104:105]
	v_fma_f64 v[170:171], s[6:7], v[82:83], v[92:93]
	v_add_f64 v[106:107], v[98:99], v[118:119]
	v_fma_f64 v[40:41], v[82:83], s[18:19], -v[40:41]
	v_fma_f64 v[98:99], v[84:85], s[24:25], -v[110:111]
	;; [unrolled: 1-line block ×6, first 2 shown]
	v_fmac_f64_e32 v[148:149], s[2:3], v[130:131]
	v_add_f64 v[108:109], v[108:109], v[168:169]
	v_fmac_f64_e32 v[170:171], s[2:3], v[64:65]
	v_add_f64 v[110:111], v[82:83], v[168:169]
	;; [unrolled: 2-line block ×5, first 2 shown]
	v_add_f64 v[74:75], v[108:109], -v[170:171]
	v_add_f64 v[82:83], v[110:111], -v[40:41]
	;; [unrolled: 1-line block ×3, first 2 shown]
	v_add_f64 v[96:97], v[36:37], v[104:105]
	v_add_f64 v[102:103], v[56:57], v[100:101]
	v_add_f64 v[100:101], v[104:105], -v[36:37]
	v_add_f64 v[104:105], v[40:41], v[110:111]
	v_add_f64 v[110:111], v[114:115], -v[148:149]
	v_add_f64 v[108:109], v[170:171], v[108:109]
	s_waitcnt vmcnt(2)
	v_mul_f64 v[36:37], v[116:117], v[158:159]
	s_waitcnt vmcnt(1)
	v_mul_f64 v[64:65], v[70:71], v[162:163]
	v_mul_f64 v[92:93], v[54:55], v[122:123]
	v_mul_f64 v[114:115], v[86:87], v[126:127]
	v_mul_f64 v[170:171], v[62:63], v[134:135]
	s_waitcnt vmcnt(0)
	v_mul_f64 v[172:173], v[112:113], v[166:167]
	v_fmac_f64_e32 v[88:89], s[2:3], v[130:131]
	v_fmac_f64_e32 v[36:37], v[94:95], v[156:157]
	;; [unrolled: 1-line block ×7, first 2 shown]
	v_add_f64 v[84:85], v[88:89], v[106:107]
	v_add_f64 v[106:107], v[106:107], -v[88:89]
	v_add_f64 v[88:89], v[36:37], -v[64:65]
	;; [unrolled: 1-line block ×4, first 2 shown]
	v_mul_f64 v[40:41], v[46:47], v[162:163]
	v_add_f64 v[168:169], v[88:89], -v[56:57]
	v_fma_f64 v[70:71], v[70:71], v[160:161], -v[40:41]
	v_add_f64 v[40:41], v[56:57], -v[174:175]
	v_add_f64 v[160:161], v[56:57], v[174:175]
	v_mul_f64 v[56:57], v[94:95], v[158:159]
	v_fma_f64 v[94:95], v[116:117], v[156:157], -v[56:57]
	v_mul_f64 v[56:57], v[90:91], v[166:167]
	v_fma_f64 v[90:91], v[112:113], v[164:165], -v[56:57]
	v_mul_u32_u24_e32 v56, 6, v152
	v_mul_f64 v[30:31], v[30:31], v[134:135]
	v_lshlrev_b32_e32 v142, 4, v56
	v_mul_f64 v[72:73], v[72:73], v[126:127]
	v_mul_f64 v[34:35], v[34:35], v[122:123]
	v_fma_f64 v[30:31], v[62:63], v[132:133], -v[30:31]
	global_load_dwordx4 v[116:119], v142, s[4:5] offset:3440
	global_load_dwordx4 v[128:131], v142, s[4:5] offset:3424
	;; [unrolled: 1-line block ×3, first 2 shown]
	v_fma_f64 v[72:73], v[86:87], v[124:125], -v[72:73]
	global_load_dwordx4 v[124:127], v142, s[4:5] offset:3472
	global_load_dwordx4 v[148:151], v142, s[4:5] offset:3456
	v_fma_f64 v[34:35], v[54:55], v[120:121], -v[34:35]
	global_load_dwordx4 v[120:123], v142, s[4:5] offset:3488
	v_add_f64 v[156:157], v[94:95], v[70:71]
	v_add_f64 v[62:63], v[30:31], v[90:91]
	;; [unrolled: 1-line block ×6, first 2 shown]
	v_mov_b64_e32 v[112:113], v[56:57]
	v_add_f64 v[64:65], v[36:37], v[64:65]
	v_add_f64 v[36:37], v[156:157], -v[54:55]
	v_add_f64 v[54:55], v[54:55], -v[62:63]
	v_fmac_f64_e32 v[112:113], s[12:13], v[86:87]
	v_add_f64 v[86:87], v[88:89], v[160:161]
	v_mul_f64 v[160:161], v[54:55], s[14:15]
	v_add_f64 v[146:147], v[170:171], v[172:173]
	v_mul_f64 v[158:159], v[36:37], s[16:17]
	v_fma_f64 v[36:37], s[16:17], v[36:37], v[160:161]
	v_add_f64 v[162:163], v[36:37], v[112:113]
	v_add_f64 v[92:93], v[92:93], v[114:115]
	;; [unrolled: 1-line block ×5, first 2 shown]
	v_add_f64 v[34:35], v[34:35], -v[72:73]
	v_add_f64 v[72:73], v[64:65], -v[92:93]
	;; [unrolled: 1-line block ×3, first 2 shown]
	v_mov_b64_e32 v[114:115], v[54:55]
	v_mul_f64 v[92:93], v[92:93], s[14:15]
	v_fmac_f64_e32 v[114:115], s[12:13], v[36:37]
	v_add_f64 v[30:31], v[30:31], -v[90:91]
	v_mul_f64 v[90:91], v[72:73], s[16:17]
	v_fma_f64 v[72:73], s[16:17], v[72:73], v[92:93]
	v_add_f64 v[70:71], v[94:95], -v[70:71]
	v_add_f64 v[94:95], v[72:73], v[114:115]
	v_add_f64 v[72:73], v[174:175], -v[88:89]
	v_mul_f64 v[88:89], v[72:73], s[20:21]
	v_add_f64 v[62:63], v[62:63], -v[156:157]
	v_mul_f64 v[46:47], v[40:41], s[10:11]
	v_fma_f64 v[144:145], v[168:169], s[18:19], -v[88:89]
	v_add_f64 v[88:89], v[70:71], -v[34:35]
	v_add_f64 v[156:157], v[34:35], -v[30:31]
	;; [unrolled: 1-line block ×3, first 2 shown]
	v_add_f64 v[34:35], v[34:35], v[30:31]
	v_fma_f64 v[64:65], v[62:63], s[22:23], -v[158:159]
	v_add_f64 v[30:31], v[30:31], -v[70:71]
	v_fma_f64 v[40:41], s[6:7], v[168:169], v[46:47]
	v_mul_f64 v[156:157], v[156:157], s[10:11]
	v_add_f64 v[166:167], v[70:71], v[34:35]
	v_add_f64 v[158:159], v[64:65], v[112:113]
	v_mul_f64 v[64:65], v[30:31], s[20:21]
	v_fma_f64 v[70:71], v[62:63], s[24:25], -v[160:161]
	v_fma_f64 v[46:47], v[72:73], s[20:21], -v[46:47]
	v_fmac_f64_e32 v[40:41], s[2:3], v[86:87]
	v_fma_f64 v[164:165], s[6:7], v[88:89], v[156:157]
	v_fmac_f64_e32 v[144:145], s[2:3], v[86:87]
	v_fma_f64 v[168:169], v[88:89], s[18:19], -v[64:65]
	v_fma_f64 v[62:63], v[146:147], s[22:23], -v[90:91]
	v_add_f64 v[88:89], v[70:71], v[112:113]
	v_fmac_f64_e32 v[46:47], s[2:3], v[86:87]
	v_fma_f64 v[70:71], v[146:147], s[24:25], -v[92:93]
	v_add_f64 v[36:37], v[40:41], v[162:163]
	v_add_f64 v[64:65], v[144:145], v[158:159]
	;; [unrolled: 1-line block ×3, first 2 shown]
	v_add_f64 v[72:73], v[88:89], -v[46:47]
	v_add_f64 v[86:87], v[70:71], v[114:115]
	v_fma_f64 v[30:31], v[30:31], s[20:21], -v[156:157]
	v_add_f64 v[88:89], v[46:47], v[88:89]
	v_add_f64 v[92:93], v[158:159], -v[144:145]
	v_add_f64 v[114:115], v[162:163], -v[40:41]
	v_fmac_f64_e32 v[164:165], s[2:3], v[166:167]
	v_fmac_f64_e32 v[30:31], s[2:3], v[166:167]
	v_add_f64 v[34:35], v[94:95], -v[164:165]
	v_add_f64 v[70:71], v[30:31], v[86:87]
	v_add_f64 v[86:87], v[86:87], -v[30:31]
	v_add_f64 v[112:113], v[164:165], v[94:95]
	s_waitcnt vmcnt(5)
	v_mul_f64 v[158:159], v[60:61], v[118:119]
	s_waitcnt vmcnt(4)
	v_mul_f64 v[40:41], v[50:51], v[130:131]
	;; [unrolled: 2-line block ×5, first 2 shown]
	v_fmac_f64_e32 v[40:41], v[26:27], v[128:129]
	s_waitcnt vmcnt(0)
	v_mul_f64 v[160:161], v[66:67], v[122:123]
	v_fmac_f64_e32 v[46:47], v[44:45], v[132:133]
	v_fmac_f64_e32 v[144:145], v[32:33], v[124:125]
	;; [unrolled: 1-line block ×5, first 2 shown]
	v_add_f64 v[94:95], v[40:41], -v[46:47]
	v_add_f64 v[30:31], v[144:145], -v[146:147]
	;; [unrolled: 1-line block ×3, first 2 shown]
	v_mul_f64 v[26:27], v[26:27], v[130:131]
	v_add_f64 v[156:157], v[94:95], -v[30:31]
	v_add_f64 v[164:165], v[30:31], -v[162:163]
	v_add_f64 v[30:31], v[30:31], v[162:163]
	v_fma_f64 v[50:51], v[50:51], v[128:129], -v[26:27]
	v_mul_f64 v[26:27], v[42:43], v[122:123]
	v_fmac_f64_e32 v[168:169], s[2:3], v[166:167]
	v_mul_f64 v[44:45], v[44:45], v[134:135]
	v_add_f64 v[166:167], v[94:95], v[30:31]
	v_fma_f64 v[42:43], v[66:67], v[120:121], -v[26:27]
	v_mul_f64 v[26:27], v[28:29], v[118:119]
	v_mul_f64 v[30:31], v[38:39], v[150:151]
	v_fma_f64 v[44:45], v[68:69], v[132:133], -v[44:45]
	v_fma_f64 v[28:29], v[60:61], v[116:117], -v[26:27]
	;; [unrolled: 1-line block ×3, first 2 shown]
	v_mul_f64 v[30:31], v[32:33], v[126:127]
	v_add_f64 v[68:69], v[50:51], v[44:45]
	v_add_f64 v[60:61], v[28:29], v[42:43]
	v_fma_f64 v[32:33], v[52:53], v[124:125], -v[30:31]
	v_add_f64 v[26:27], v[68:69], v[60:61]
	v_add_f64 v[30:31], v[32:33], v[38:39]
	;; [unrolled: 1-line block ×4, first 2 shown]
	v_mov_b64_e32 v[48:49], v[26:27]
	v_fmac_f64_e32 v[48:49], s[12:13], v[52:53]
	v_add_f64 v[52:53], v[68:69], -v[30:31]
	v_add_f64 v[30:31], v[30:31], -v[60:61]
	v_mul_f64 v[66:67], v[30:31], s[14:15]
	v_mul_f64 v[58:59], v[52:53], s[16:17]
	v_fma_f64 v[30:31], s[16:17], v[52:53], v[66:67]
	v_add_f64 v[46:47], v[40:41], v[46:47]
	v_add_f64 v[52:53], v[158:159], v[160:161]
	v_add_f64 v[40:41], v[46:47], v[52:53]
	v_add_f64 v[118:119], v[144:145], v[146:147]
	v_add_f64 v[40:41], v[118:119], v[40:41]
	v_add_f64 v[24:25], v[24:25], v[40:41]
	v_add_f64 v[32:33], v[32:33], -v[38:39]
	v_add_f64 v[42:43], v[28:29], -v[42:43]
	v_mov_b64_e32 v[120:121], v[24:25]
	v_add_f64 v[44:45], v[50:51], -v[44:45]
	v_add_f64 v[28:29], v[32:33], -v[42:43]
	v_fmac_f64_e32 v[120:121], s[12:13], v[40:41]
	v_add_f64 v[40:41], v[46:47], -v[118:119]
	v_mul_f64 v[50:51], v[28:29], s[10:11]
	v_add_f64 v[28:29], v[32:33], v[42:43]
	v_add_f64 v[42:43], v[42:43], -v[44:45]
	v_mul_f64 v[122:123], v[40:41], s[16:17]
	v_add_f64 v[38:39], v[44:45], -v[32:33]
	v_add_f64 v[32:33], v[44:45], v[28:29]
	v_add_f64 v[46:47], v[52:53], -v[46:47]
	v_mul_f64 v[44:45], v[42:43], s[20:21]
	v_add_f64 v[118:119], v[118:119], -v[52:53]
	v_fma_f64 v[126:127], s[6:7], v[38:39], v[50:51]
	v_fma_f64 v[52:53], v[46:47], s[22:23], -v[122:123]
	v_fma_f64 v[122:123], v[38:39], s[18:19], -v[44:45]
	;; [unrolled: 1-line block ×3, first 2 shown]
	v_fmac_f64_e32 v[126:127], s[2:3], v[32:33]
	v_add_f64 v[60:61], v[60:61], -v[68:69]
	v_fmac_f64_e32 v[122:123], s[2:3], v[32:33]
	v_fmac_f64_e32 v[50:51], s[2:3], v[32:33]
	v_mad_u64_u32 v[32:33], s[26:27], s8, v152, 0
	v_fma_f64 v[44:45], v[60:61], s[24:25], -v[66:67]
	v_mov_b32_e32 v66, v33
	v_mad_u64_u32 v[66:67], s[26:27], s9, v152, v[66:67]
	v_mov_b32_e32 v33, v66
	v_lshl_add_u64 v[32:33], v[32:33], 4, v[136:137]
	v_mul_f64 v[118:119], v[118:119], s[14:15]
	global_store_dwordx4 v[32:33], v[24:27], off
	v_fma_f64 v[40:41], s[16:17], v[40:41], v[118:119]
	v_add_f64 v[94:95], v[162:163], -v[94:95]
	v_add_u32_e32 v27, 0xd8, v152
	v_mad_u64_u32 v[24:25], s[26:27], s8, v27, 0
	v_mul_f64 v[164:165], v[164:165], s[10:11]
	v_add_f64 v[124:125], v[40:41], v[120:121]
	v_mul_f64 v[40:41], v[94:95], s[20:21]
	v_mov_b32_e32 v26, v25
	v_fma_f64 v[134:135], s[6:7], v[156:157], v[164:165]
	v_fma_f64 v[128:129], v[156:157], s[18:19], -v[40:41]
	v_fma_f64 v[40:41], v[60:61], s[22:23], -v[58:59]
	v_add_f64 v[68:69], v[52:53], v[120:121]
	v_fma_f64 v[52:53], v[94:95], s[20:21], -v[164:165]
	v_mad_u64_u32 v[26:27], s[26:27], s9, v27, v[26:27]
	v_fmac_f64_e32 v[134:135], s[2:3], v[166:167]
	v_add_f64 v[116:117], v[30:31], v[48:49]
	v_fmac_f64_e32 v[128:129], s[2:3], v[166:167]
	v_add_f64 v[58:59], v[40:41], v[48:49]
	v_add_f64 v[48:49], v[44:45], v[48:49]
	v_fmac_f64_e32 v[52:53], s[2:3], v[166:167]
	v_mov_b32_e32 v25, v26
	v_add_f64 v[40:41], v[128:129], v[58:59]
	v_add_f64 v[44:45], v[48:49], -v[52:53]
	v_add_f64 v[48:49], v[52:53], v[48:49]
	v_add_f64 v[52:53], v[58:59], -v[128:129]
	v_add_f64 v[60:61], v[116:117], -v[134:135]
	v_add_f64 v[58:59], v[126:127], v[124:125]
	v_lshl_add_u64 v[24:25], v[24:25], 4, v[136:137]
	v_add_u32_e32 v27, 0x1b0, v152
	global_store_dwordx4 v[24:25], v[58:61], off
	v_mad_u64_u32 v[24:25], s[26:27], s8, v27, 0
	v_mov_b32_e32 v26, v25
	v_fma_f64 v[46:47], v[46:47], s[24:25], -v[118:119]
	v_mad_u64_u32 v[26:27], s[26:27], s9, v27, v[26:27]
	v_add_f64 v[46:47], v[46:47], v[120:121]
	v_mov_b32_e32 v25, v26
	v_add_f64 v[42:43], v[50:51], v[46:47]
	v_add_f64 v[46:47], v[46:47], -v[50:51]
	v_add_f64 v[50:51], v[122:123], v[68:69]
	v_lshl_add_u64 v[24:25], v[24:25], 4, v[136:137]
	v_add_u32_e32 v27, 0x288, v152
	global_store_dwordx4 v[24:25], v[50:53], off
	v_mad_u64_u32 v[24:25], s[26:27], s8, v27, 0
	v_mov_b32_e32 v26, v25
	v_mad_u64_u32 v[26:27], s[26:27], s9, v27, v[26:27]
	v_mov_b32_e32 v25, v26
	v_lshl_add_u64 v[24:25], v[24:25], 4, v[136:137]
	v_add_u32_e32 v27, 0x360, v152
	global_store_dwordx4 v[24:25], v[46:49], off
	v_mad_u64_u32 v[24:25], s[26:27], s8, v27, 0
	v_mov_b32_e32 v26, v25
	v_mad_u64_u32 v[26:27], s[26:27], s9, v27, v[26:27]
	v_mov_b32_e32 v25, v26
	;; [unrolled: 7-line block ×3, first 2 shown]
	v_add_f64 v[38:39], v[68:69], -v[122:123]
	v_lshl_add_u64 v[24:25], v[24:25], 4, v[136:137]
	v_add_u32_e32 v27, 0x510, v152
	global_store_dwordx4 v[24:25], v[38:41], off
	v_mad_u64_u32 v[24:25], s[26:27], s8, v27, 0
	v_mov_b32_e32 v26, v25
	v_mad_u64_u32 v[26:27], s[26:27], s9, v27, v[26:27]
	v_mov_b32_e32 v25, v26
	v_add_f64 v[30:31], v[134:135], v[116:117]
	v_add_f64 v[28:29], v[124:125], -v[126:127]
	v_lshl_add_u64 v[24:25], v[24:25], 4, v[136:137]
	global_store_dwordx4 v[24:25], v[28:31], off
	v_mad_u64_u32 v[24:25], s[26:27], s8, v154, 0
	v_mov_b32_e32 v26, v25
	v_mad_u64_u32 v[26:27], s[26:27], s9, v154, v[26:27]
	v_mov_b32_e32 v25, v26
	v_lshl_add_u64 v[24:25], v[24:25], 4, v[136:137]
	v_add_u32_e32 v27, 0x117, v152
	global_store_dwordx4 v[24:25], v[54:57], off
	v_mad_u64_u32 v[24:25], s[26:27], s8, v27, 0
	v_mov_b32_e32 v26, v25
	v_mad_u64_u32 v[26:27], s[26:27], s9, v27, v[26:27]
	v_mov_b32_e32 v25, v26
	v_lshl_add_u64 v[24:25], v[24:25], 4, v[136:137]
	v_add_u32_e32 v27, 0x1ef, v152
	global_store_dwordx4 v[24:25], v[112:115], off
	v_mad_u64_u32 v[24:25], s[26:27], s8, v27, 0
	v_mov_b32_e32 v26, v25
	v_mad_u64_u32 v[26:27], s[26:27], s9, v27, v[26:27]
	v_mov_b32_e32 v25, v26
	v_add_f64 v[62:63], v[90:91], -v[168:169]
	v_add_f64 v[90:91], v[168:169], v[90:91]
	v_lshl_add_u64 v[24:25], v[24:25], 4, v[136:137]
	v_add_u32_e32 v27, 0x2c7, v152
	global_store_dwordx4 v[24:25], v[90:93], off
	v_mad_u64_u32 v[24:25], s[26:27], s8, v27, 0
	v_mov_b32_e32 v26, v25
	v_mad_u64_u32 v[26:27], s[26:27], s9, v27, v[26:27]
	v_mov_b32_e32 v25, v26
	v_lshl_add_u64 v[24:25], v[24:25], 4, v[136:137]
	v_add_u32_e32 v27, 0x39f, v152
	global_store_dwordx4 v[24:25], v[86:89], off
	v_mad_u64_u32 v[24:25], s[26:27], s8, v27, 0
	v_mov_b32_e32 v26, v25
	v_mad_u64_u32 v[26:27], s[26:27], s9, v27, v[26:27]
	v_mov_b32_e32 v25, v26
	;; [unrolled: 7-line block ×4, first 2 shown]
	v_lshl_add_u64 v[24:25], v[24:25], 4, v[136:137]
	global_store_dwordx4 v[24:25], v[34:37], off
	v_add_u32_e32 v24, 0x7e, v152
	v_lshrrev_b32_e32 v25, 3, v24
	s_mov_b32 s26, 0x97b425f
	v_mul_hi_u32 v25, v25, s26
	v_mad_u32_u24 v28, v25, s28, v24
	v_mad_u64_u32 v[24:25], s[26:27], s8, v28, 0
	v_mov_b32_e32 v26, v25
	v_mad_u64_u32 v[26:27], s[26:27], s9, v28, v[26:27]
	v_mov_b32_e32 v25, v26
	v_lshl_add_u64 v[24:25], v[24:25], 4, v[136:137]
	v_add_u32_e32 v27, 0xd8, v28
	global_store_dwordx4 v[24:25], v[78:81], off
	v_mad_u64_u32 v[24:25], s[26:27], s8, v27, 0
	v_mov_b32_e32 v26, v25
	v_mad_u64_u32 v[26:27], s[26:27], s9, v27, v[26:27]
	v_mov_b32_e32 v25, v26
	v_lshl_add_u64 v[24:25], v[24:25], 4, v[136:137]
	v_add_u32_e32 v27, 0x1b0, v28
	global_store_dwordx4 v[24:25], v[108:111], off
	;; [unrolled: 7-line block ×6, first 2 shown]
	v_mad_u64_u32 v[24:25], s[26:27], s8, v27, 0
	v_mov_b32_e32 v26, v25
	v_mad_u64_u32 v[26:27], s[26:27], s9, v27, v[26:27]
	v_mov_b32_e32 v25, v26
	v_lshl_add_u64 v[24:25], v[24:25], 4, v[136:137]
	global_store_dwordx4 v[24:25], v[74:77], off
	s_and_b64 exec, exec, s[0:1]
	s_cbranch_execz .LBB0_20
; %bb.19:
	v_subrev_u32_e32 v24, 27, v152
	v_cndmask_b32_e64 v24, v24, v153, s[0:1]
	v_mul_i32_i24_e32 v142, 6, v24
	v_lshl_add_u64 v[48:49], v[142:143], 4, s[4:5]
	global_load_dwordx4 v[24:27], v[48:49], off offset:3424
	global_load_dwordx4 v[28:31], v[48:49], off offset:3440
	;; [unrolled: 1-line block ×6, first 2 shown]
	s_waitcnt vmcnt(5)
	v_mul_f64 v[48:49], v[4:5], v[26:27]
	v_mul_f64 v[26:27], v[0:1], v[26:27]
	s_waitcnt vmcnt(4)
	v_mul_f64 v[50:51], v[6:7], v[30:31]
	v_mul_f64 v[30:31], v[2:3], v[30:31]
	;; [unrolled: 3-line block ×4, first 2 shown]
	v_mul_f64 v[52:53], v[20:21], v[34:35]
	v_mul_f64 v[34:35], v[12:13], v[34:35]
	;; [unrolled: 1-line block ×4, first 2 shown]
	v_fmac_f64_e32 v[48:49], v[0:1], v[24:25]
	v_fma_f64 v[0:1], v[4:5], v[24:25], -v[26:27]
	v_fmac_f64_e32 v[50:51], v[2:3], v[28:29]
	v_fma_f64 v[2:3], v[6:7], v[28:29], -v[30:31]
	;; [unrolled: 2-line block ×6, first 2 shown]
	v_add_f64 v[12:13], v[48:49], v[58:59]
	v_add_f64 v[14:15], v[0:1], v[10:11]
	v_add_f64 v[0:1], v[0:1], -v[10:11]
	v_add_f64 v[10:11], v[50:51], v[56:57]
	v_add_f64 v[18:19], v[2:3], v[8:9]
	v_add_f64 v[16:17], v[48:49], -v[58:59]
	v_add_f64 v[20:21], v[50:51], -v[56:57]
	;; [unrolled: 1-line block ×3, first 2 shown]
	v_add_f64 v[8:9], v[52:53], v[54:55]
	v_add_f64 v[22:23], v[4:5], v[6:7]
	v_add_f64 v[24:25], v[54:55], -v[52:53]
	v_add_f64 v[4:5], v[6:7], -v[4:5]
	v_add_f64 v[6:7], v[10:11], v[12:13]
	v_add_f64 v[26:27], v[18:19], v[14:15]
	v_add_f64 v[28:29], v[10:11], -v[12:13]
	v_add_f64 v[30:31], v[18:19], -v[14:15]
	;; [unrolled: 1-line block ×6, first 2 shown]
	v_add_f64 v[32:33], v[24:25], v[20:21]
	v_add_f64 v[34:35], v[4:5], v[2:3]
	v_add_f64 v[36:37], v[24:25], -v[20:21]
	v_add_f64 v[38:39], v[4:5], -v[2:3]
	;; [unrolled: 1-line block ×4, first 2 shown]
	v_add_f64 v[6:7], v[8:9], v[6:7]
	v_add_f64 v[8:9], v[22:23], v[26:27]
	v_add_f64 v[24:25], v[16:17], -v[24:25]
	v_add_f64 v[4:5], v[0:1], -v[4:5]
	v_add_f64 v[16:17], v[32:33], v[16:17]
	v_add_f64 v[22:23], v[34:35], v[0:1]
	v_mul_f64 v[12:13], v[12:13], s[16:17]
	v_mul_f64 v[14:15], v[14:15], s[16:17]
	;; [unrolled: 1-line block ×8, first 2 shown]
	v_add_f64 v[0:1], v[138:139], v[6:7]
	v_add_f64 v[2:3], v[140:141], v[8:9]
	v_fma_f64 v[10:11], s[14:15], v[10:11], v[12:13]
	v_fma_f64 v[26:27], v[28:29], s[24:25], -v[26:27]
	v_fma_f64 v[32:33], v[30:31], s[24:25], -v[32:33]
	v_fma_f64 v[12:13], v[28:29], s[22:23], -v[12:13]
	v_fma_f64 v[28:29], v[30:31], s[22:23], -v[14:15]
	v_fmac_f64_e32 v[14:15], s[14:15], v[18:19]
	v_fma_f64 v[30:31], s[6:7], v[24:25], v[34:35]
	v_fma_f64 v[18:19], v[20:21], s[20:21], -v[34:35]
	v_fma_f64 v[20:21], v[40:41], s[20:21], -v[36:37]
	v_fmac_f64_e32 v[36:37], s[6:7], v[4:5]
	v_fma_f64 v[24:25], v[24:25], s[18:19], -v[38:39]
	v_fma_f64 v[34:35], v[4:5], s[18:19], -v[42:43]
	v_mov_b64_e32 v[4:5], v[0:1]
	v_mov_b64_e32 v[38:39], v[2:3]
	v_fmac_f64_e32 v[4:5], s[12:13], v[6:7]
	v_fmac_f64_e32 v[38:39], s[12:13], v[8:9]
	v_add_f64 v[42:43], v[14:15], v[38:39]
	v_add_f64 v[26:27], v[26:27], v[4:5]
	v_fmac_f64_e32 v[30:31], s[2:3], v[16:17]
	v_fmac_f64_e32 v[20:21], s[2:3], v[22:23]
	v_add_f64 v[44:45], v[12:13], v[4:5]
	v_add_f64 v[28:29], v[28:29], v[38:39]
	v_fmac_f64_e32 v[18:19], s[2:3], v[16:17]
	v_fmac_f64_e32 v[24:25], s[2:3], v[16:17]
	v_add_f64 v[6:7], v[42:43], -v[30:31]
	v_add_f64 v[12:13], v[26:27], -v[20:21]
	v_add_f64 v[16:17], v[20:21], v[26:27]
	v_add_f64 v[26:27], v[30:31], v[42:43]
	v_add_u32_e32 v31, 0xbd, v152
	v_add_f64 v[40:41], v[10:11], v[4:5]
	v_fmac_f64_e32 v[36:37], s[2:3], v[22:23]
	v_fmac_f64_e32 v[34:35], s[2:3], v[22:23]
	v_add_f64 v[10:11], v[28:29], -v[24:25]
	v_add_f64 v[22:23], v[24:25], v[28:29]
	v_mad_u64_u32 v[28:29], s[0:1], s8, v31, 0
	v_mov_b32_e32 v30, v29
	v_mad_u64_u32 v[30:31], s[0:1], s9, v31, v[30:31]
	v_mov_b32_e32 v29, v30
	v_lshl_add_u64 v[28:29], v[28:29], 4, v[136:137]
	global_store_dwordx4 v[28:29], v[0:3], off
	v_add_f64 v[4:5], v[36:37], v[40:41]
	v_add_f64 v[8:9], v[34:35], v[44:45]
	v_add_u32_e32 v3, 0x195, v152
	v_mad_u64_u32 v[0:1], s[0:1], s8, v3, 0
	v_mov_b32_e32 v2, v1
	v_mad_u64_u32 v[2:3], s[0:1], s9, v3, v[2:3]
	v_mov_b32_e32 v1, v2
	v_lshl_add_u64 v[0:1], v[0:1], 4, v[136:137]
	v_add_u32_e32 v3, 0x26d, v152
	global_store_dwordx4 v[0:1], v[4:7], off
	v_mad_u64_u32 v[0:1], s[0:1], s8, v3, 0
	v_mov_b32_e32 v2, v1
	v_mad_u64_u32 v[2:3], s[0:1], s9, v3, v[2:3]
	v_mov_b32_e32 v1, v2
	v_lshl_add_u64 v[0:1], v[0:1], 4, v[136:137]
	v_add_u32_e32 v3, 0x345, v152
	global_store_dwordx4 v[0:1], v[8:11], off
	v_mad_u64_u32 v[0:1], s[0:1], s8, v3, 0
	v_mov_b32_e32 v2, v1
	v_mad_u64_u32 v[2:3], s[0:1], s9, v3, v[2:3]
	v_add_f64 v[32:33], v[32:33], v[38:39]
	v_mov_b32_e32 v1, v2
	v_add_f64 v[14:15], v[18:19], v[32:33]
	v_lshl_add_u64 v[0:1], v[0:1], 4, v[136:137]
	v_add_u32_e32 v3, 0x41d, v152
	global_store_dwordx4 v[0:1], v[12:15], off
	v_mad_u64_u32 v[0:1], s[0:1], s8, v3, 0
	v_mov_b32_e32 v2, v1
	v_mad_u64_u32 v[2:3], s[0:1], s9, v3, v[2:3]
	v_mov_b32_e32 v1, v2
	v_add_f64 v[18:19], v[32:33], -v[18:19]
	v_lshl_add_u64 v[0:1], v[0:1], 4, v[136:137]
	v_add_u32_e32 v3, 0x4f5, v152
	global_store_dwordx4 v[0:1], v[16:19], off
	v_mad_u64_u32 v[0:1], s[0:1], s8, v3, 0
	v_mov_b32_e32 v2, v1
	v_mad_u64_u32 v[2:3], s[0:1], s9, v3, v[2:3]
	v_mov_b32_e32 v1, v2
	v_add_f64 v[20:21], v[44:45], -v[34:35]
	;; [unrolled: 8-line block ×3, first 2 shown]
	v_lshl_add_u64 v[0:1], v[0:1], 4, v[136:137]
	global_store_dwordx4 v[0:1], v[24:27], off
.LBB0_20:
	s_endpgm
	.section	.rodata,"a",@progbits
	.p2align	6, 0x0
	.amdhsa_kernel fft_rtc_back_len1512_factors_2_2_2_3_3_3_7_wgs_63_tpt_63_halfLds_dp_ip_CI_sbrr_dirReg
		.amdhsa_group_segment_fixed_size 0
		.amdhsa_private_segment_fixed_size 0
		.amdhsa_kernarg_size 88
		.amdhsa_user_sgpr_count 2
		.amdhsa_user_sgpr_dispatch_ptr 0
		.amdhsa_user_sgpr_queue_ptr 0
		.amdhsa_user_sgpr_kernarg_segment_ptr 1
		.amdhsa_user_sgpr_dispatch_id 0
		.amdhsa_user_sgpr_kernarg_preload_length 0
		.amdhsa_user_sgpr_kernarg_preload_offset 0
		.amdhsa_user_sgpr_private_segment_size 0
		.amdhsa_uses_dynamic_stack 0
		.amdhsa_enable_private_segment 0
		.amdhsa_system_sgpr_workgroup_id_x 1
		.amdhsa_system_sgpr_workgroup_id_y 0
		.amdhsa_system_sgpr_workgroup_id_z 0
		.amdhsa_system_sgpr_workgroup_info 0
		.amdhsa_system_vgpr_workitem_id 0
		.amdhsa_next_free_vgpr 196
		.amdhsa_next_free_sgpr 29
		.amdhsa_accum_offset 196
		.amdhsa_reserve_vcc 1
		.amdhsa_float_round_mode_32 0
		.amdhsa_float_round_mode_16_64 0
		.amdhsa_float_denorm_mode_32 3
		.amdhsa_float_denorm_mode_16_64 3
		.amdhsa_dx10_clamp 1
		.amdhsa_ieee_mode 1
		.amdhsa_fp16_overflow 0
		.amdhsa_tg_split 0
		.amdhsa_exception_fp_ieee_invalid_op 0
		.amdhsa_exception_fp_denorm_src 0
		.amdhsa_exception_fp_ieee_div_zero 0
		.amdhsa_exception_fp_ieee_overflow 0
		.amdhsa_exception_fp_ieee_underflow 0
		.amdhsa_exception_fp_ieee_inexact 0
		.amdhsa_exception_int_div_zero 0
	.end_amdhsa_kernel
	.text
.Lfunc_end0:
	.size	fft_rtc_back_len1512_factors_2_2_2_3_3_3_7_wgs_63_tpt_63_halfLds_dp_ip_CI_sbrr_dirReg, .Lfunc_end0-fft_rtc_back_len1512_factors_2_2_2_3_3_3_7_wgs_63_tpt_63_halfLds_dp_ip_CI_sbrr_dirReg
                                        ; -- End function
	.section	.AMDGPU.csdata,"",@progbits
; Kernel info:
; codeLenInByte = 19032
; NumSgprs: 35
; NumVgprs: 196
; NumAgprs: 0
; TotalNumVgprs: 196
; ScratchSize: 0
; MemoryBound: 1
; FloatMode: 240
; IeeeMode: 1
; LDSByteSize: 0 bytes/workgroup (compile time only)
; SGPRBlocks: 4
; VGPRBlocks: 24
; NumSGPRsForWavesPerEU: 35
; NumVGPRsForWavesPerEU: 196
; AccumOffset: 196
; Occupancy: 2
; WaveLimiterHint : 1
; COMPUTE_PGM_RSRC2:SCRATCH_EN: 0
; COMPUTE_PGM_RSRC2:USER_SGPR: 2
; COMPUTE_PGM_RSRC2:TRAP_HANDLER: 0
; COMPUTE_PGM_RSRC2:TGID_X_EN: 1
; COMPUTE_PGM_RSRC2:TGID_Y_EN: 0
; COMPUTE_PGM_RSRC2:TGID_Z_EN: 0
; COMPUTE_PGM_RSRC2:TIDIG_COMP_CNT: 0
; COMPUTE_PGM_RSRC3_GFX90A:ACCUM_OFFSET: 48
; COMPUTE_PGM_RSRC3_GFX90A:TG_SPLIT: 0
	.text
	.p2alignl 6, 3212836864
	.fill 256, 4, 3212836864
	.type	__hip_cuid_bbfd1fd5ff9a6164,@object ; @__hip_cuid_bbfd1fd5ff9a6164
	.section	.bss,"aw",@nobits
	.globl	__hip_cuid_bbfd1fd5ff9a6164
__hip_cuid_bbfd1fd5ff9a6164:
	.byte	0                               ; 0x0
	.size	__hip_cuid_bbfd1fd5ff9a6164, 1

	.ident	"AMD clang version 19.0.0git (https://github.com/RadeonOpenCompute/llvm-project roc-6.4.0 25133 c7fe45cf4b819c5991fe208aaa96edf142730f1d)"
	.section	".note.GNU-stack","",@progbits
	.addrsig
	.addrsig_sym __hip_cuid_bbfd1fd5ff9a6164
	.amdgpu_metadata
---
amdhsa.kernels:
  - .agpr_count:     0
    .args:
      - .actual_access:  read_only
        .address_space:  global
        .offset:         0
        .size:           8
        .value_kind:     global_buffer
      - .offset:         8
        .size:           8
        .value_kind:     by_value
      - .actual_access:  read_only
        .address_space:  global
        .offset:         16
        .size:           8
        .value_kind:     global_buffer
      - .actual_access:  read_only
        .address_space:  global
        .offset:         24
        .size:           8
        .value_kind:     global_buffer
      - .offset:         32
        .size:           8
        .value_kind:     by_value
      - .actual_access:  read_only
        .address_space:  global
        .offset:         40
        .size:           8
        .value_kind:     global_buffer
      - .actual_access:  read_only
        .address_space:  global
        .offset:         48
        .size:           8
        .value_kind:     global_buffer
      - .offset:         56
        .size:           4
        .value_kind:     by_value
      - .actual_access:  read_only
        .address_space:  global
        .offset:         64
        .size:           8
        .value_kind:     global_buffer
      - .actual_access:  read_only
        .address_space:  global
        .offset:         72
        .size:           8
        .value_kind:     global_buffer
      - .address_space:  global
        .offset:         80
        .size:           8
        .value_kind:     global_buffer
    .group_segment_fixed_size: 0
    .kernarg_segment_align: 8
    .kernarg_segment_size: 88
    .language:       OpenCL C
    .language_version:
      - 2
      - 0
    .max_flat_workgroup_size: 63
    .name:           fft_rtc_back_len1512_factors_2_2_2_3_3_3_7_wgs_63_tpt_63_halfLds_dp_ip_CI_sbrr_dirReg
    .private_segment_fixed_size: 0
    .sgpr_count:     35
    .sgpr_spill_count: 0
    .symbol:         fft_rtc_back_len1512_factors_2_2_2_3_3_3_7_wgs_63_tpt_63_halfLds_dp_ip_CI_sbrr_dirReg.kd
    .uniform_work_group_size: 1
    .uses_dynamic_stack: false
    .vgpr_count:     196
    .vgpr_spill_count: 0
    .wavefront_size: 64
amdhsa.target:   amdgcn-amd-amdhsa--gfx950
amdhsa.version:
  - 1
  - 2
...

	.end_amdgpu_metadata
